;; amdgpu-corpus repo=ROCm/rocThrust kind=compiled arch=gfx906 opt=O3
	.amdgcn_target "amdgcn-amd-amdhsa--gfx906"
	.amdhsa_code_object_version 6
	.section	.text._ZN6thrust23THRUST_200600_302600_NS11hip_rocprim14__parallel_for6kernelILj256ENS1_10for_each_fINS0_17counting_iteratorImNS0_11use_defaultES6_S6_EENS0_6detail16wrapped_functionI22mark_processed_functorIxEvEEEExLj1EEEvT0_T1_SF_,"axG",@progbits,_ZN6thrust23THRUST_200600_302600_NS11hip_rocprim14__parallel_for6kernelILj256ENS1_10for_each_fINS0_17counting_iteratorImNS0_11use_defaultES6_S6_EENS0_6detail16wrapped_functionI22mark_processed_functorIxEvEEEExLj1EEEvT0_T1_SF_,comdat
	.protected	_ZN6thrust23THRUST_200600_302600_NS11hip_rocprim14__parallel_for6kernelILj256ENS1_10for_each_fINS0_17counting_iteratorImNS0_11use_defaultES6_S6_EENS0_6detail16wrapped_functionI22mark_processed_functorIxEvEEEExLj1EEEvT0_T1_SF_ ; -- Begin function _ZN6thrust23THRUST_200600_302600_NS11hip_rocprim14__parallel_for6kernelILj256ENS1_10for_each_fINS0_17counting_iteratorImNS0_11use_defaultES6_S6_EENS0_6detail16wrapped_functionI22mark_processed_functorIxEvEEEExLj1EEEvT0_T1_SF_
	.globl	_ZN6thrust23THRUST_200600_302600_NS11hip_rocprim14__parallel_for6kernelILj256ENS1_10for_each_fINS0_17counting_iteratorImNS0_11use_defaultES6_S6_EENS0_6detail16wrapped_functionI22mark_processed_functorIxEvEEEExLj1EEEvT0_T1_SF_
	.p2align	8
	.type	_ZN6thrust23THRUST_200600_302600_NS11hip_rocprim14__parallel_for6kernelILj256ENS1_10for_each_fINS0_17counting_iteratorImNS0_11use_defaultES6_S6_EENS0_6detail16wrapped_functionI22mark_processed_functorIxEvEEEExLj1EEEvT0_T1_SF_,@function
_ZN6thrust23THRUST_200600_302600_NS11hip_rocprim14__parallel_for6kernelILj256ENS1_10for_each_fINS0_17counting_iteratorImNS0_11use_defaultES6_S6_EENS0_6detail16wrapped_functionI22mark_processed_functorIxEvEEEExLj1EEEvT0_T1_SF_: ; @_ZN6thrust23THRUST_200600_302600_NS11hip_rocprim14__parallel_for6kernelILj256ENS1_10for_each_fINS0_17counting_iteratorImNS0_11use_defaultES6_S6_EENS0_6detail16wrapped_functionI22mark_processed_functorIxEvEEEExLj1EEEvT0_T1_SF_
; %bb.0:
	s_load_dwordx8 s[8:15], s[4:5], 0x0
	s_lshl_b32 s0, s6, 8
	v_mov_b32_e32 v1, 0x100
	v_mov_b32_e32 v2, 0
	s_waitcnt lgkmcnt(0)
	s_add_u32 s2, s14, s0
	s_addc_u32 s3, s15, 0
	s_sub_u32 s0, s12, s2
	s_subb_u32 s1, s13, s3
	v_cmp_lt_i64_e32 vcc, s[0:1], v[1:2]
	s_and_b64 s[4:5], vcc, exec
	s_cselect_b32 s0, s0, 0x100
	s_cmpk_eq_i32 s0, 0x100
	s_cbranch_scc1 .LBB0_4
; %bb.1:
	v_cmp_gt_u32_e32 vcc, s0, v0
	s_mov_b64 s[4:5], 0
	s_mov_b64 s[0:1], 0
                                        ; implicit-def: $vgpr1_vgpr2
	s_and_saveexec_b64 s[6:7], vcc
; %bb.2:
	s_lshl_b64 s[12:13], s[2:3], 3
	s_add_u32 s12, s10, s12
	s_addc_u32 s13, s11, s13
	v_lshlrev_b32_e32 v1, 3, v0
	v_mov_b32_e32 v2, s13
	v_add_co_u32_e32 v1, vcc, s12, v1
	s_mov_b64 s[0:1], exec
	v_addc_co_u32_e32 v2, vcc, 0, v2, vcc
; %bb.3:
	s_or_b64 exec, exec, s[6:7]
	s_and_b64 vcc, exec, s[4:5]
	s_cbranch_vccnz .LBB0_5
	s_branch .LBB0_6
.LBB0_4:
	s_mov_b64 s[0:1], 0
                                        ; implicit-def: $vgpr1_vgpr2
	s_cbranch_execz .LBB0_6
.LBB0_5:
	s_lshl_b64 s[2:3], s[2:3], 3
	s_add_u32 s2, s10, s2
	s_addc_u32 s3, s11, s3
	v_lshlrev_b32_e32 v0, 3, v0
	v_mov_b32_e32 v2, s3
	v_add_co_u32_e32 v1, vcc, s2, v0
	v_addc_co_u32_e32 v2, vcc, 0, v2, vcc
	s_or_b64 s[0:1], s[0:1], exec
.LBB0_6:
	s_and_saveexec_b64 s[2:3], s[0:1]
	s_cbranch_execnz .LBB0_8
; %bb.7:
	s_endpgm
.LBB0_8:
	s_lshl_b64 s[0:1], s[8:9], 3
	v_mov_b32_e32 v3, s1
	v_add_co_u32_e32 v0, vcc, s0, v1
	v_addc_co_u32_e32 v1, vcc, v2, v3, vcc
	v_mov_b32_e32 v2, 1
	v_mov_b32_e32 v3, 0
	global_store_dwordx2 v[0:1], v[2:3], off
	s_endpgm
	.section	.rodata,"a",@progbits
	.p2align	6, 0x0
	.amdhsa_kernel _ZN6thrust23THRUST_200600_302600_NS11hip_rocprim14__parallel_for6kernelILj256ENS1_10for_each_fINS0_17counting_iteratorImNS0_11use_defaultES6_S6_EENS0_6detail16wrapped_functionI22mark_processed_functorIxEvEEEExLj1EEEvT0_T1_SF_
		.amdhsa_group_segment_fixed_size 0
		.amdhsa_private_segment_fixed_size 0
		.amdhsa_kernarg_size 32
		.amdhsa_user_sgpr_count 6
		.amdhsa_user_sgpr_private_segment_buffer 1
		.amdhsa_user_sgpr_dispatch_ptr 0
		.amdhsa_user_sgpr_queue_ptr 0
		.amdhsa_user_sgpr_kernarg_segment_ptr 1
		.amdhsa_user_sgpr_dispatch_id 0
		.amdhsa_user_sgpr_flat_scratch_init 0
		.amdhsa_user_sgpr_private_segment_size 0
		.amdhsa_uses_dynamic_stack 0
		.amdhsa_system_sgpr_private_segment_wavefront_offset 0
		.amdhsa_system_sgpr_workgroup_id_x 1
		.amdhsa_system_sgpr_workgroup_id_y 0
		.amdhsa_system_sgpr_workgroup_id_z 0
		.amdhsa_system_sgpr_workgroup_info 0
		.amdhsa_system_vgpr_workitem_id 0
		.amdhsa_next_free_vgpr 4
		.amdhsa_next_free_sgpr 16
		.amdhsa_reserve_vcc 1
		.amdhsa_reserve_flat_scratch 0
		.amdhsa_float_round_mode_32 0
		.amdhsa_float_round_mode_16_64 0
		.amdhsa_float_denorm_mode_32 3
		.amdhsa_float_denorm_mode_16_64 3
		.amdhsa_dx10_clamp 1
		.amdhsa_ieee_mode 1
		.amdhsa_fp16_overflow 0
		.amdhsa_exception_fp_ieee_invalid_op 0
		.amdhsa_exception_fp_denorm_src 0
		.amdhsa_exception_fp_ieee_div_zero 0
		.amdhsa_exception_fp_ieee_overflow 0
		.amdhsa_exception_fp_ieee_underflow 0
		.amdhsa_exception_fp_ieee_inexact 0
		.amdhsa_exception_int_div_zero 0
	.end_amdhsa_kernel
	.section	.text._ZN6thrust23THRUST_200600_302600_NS11hip_rocprim14__parallel_for6kernelILj256ENS1_10for_each_fINS0_17counting_iteratorImNS0_11use_defaultES6_S6_EENS0_6detail16wrapped_functionI22mark_processed_functorIxEvEEEExLj1EEEvT0_T1_SF_,"axG",@progbits,_ZN6thrust23THRUST_200600_302600_NS11hip_rocprim14__parallel_for6kernelILj256ENS1_10for_each_fINS0_17counting_iteratorImNS0_11use_defaultES6_S6_EENS0_6detail16wrapped_functionI22mark_processed_functorIxEvEEEExLj1EEEvT0_T1_SF_,comdat
.Lfunc_end0:
	.size	_ZN6thrust23THRUST_200600_302600_NS11hip_rocprim14__parallel_for6kernelILj256ENS1_10for_each_fINS0_17counting_iteratorImNS0_11use_defaultES6_S6_EENS0_6detail16wrapped_functionI22mark_processed_functorIxEvEEEExLj1EEEvT0_T1_SF_, .Lfunc_end0-_ZN6thrust23THRUST_200600_302600_NS11hip_rocprim14__parallel_for6kernelILj256ENS1_10for_each_fINS0_17counting_iteratorImNS0_11use_defaultES6_S6_EENS0_6detail16wrapped_functionI22mark_processed_functorIxEvEEEExLj1EEEvT0_T1_SF_
                                        ; -- End function
	.set _ZN6thrust23THRUST_200600_302600_NS11hip_rocprim14__parallel_for6kernelILj256ENS1_10for_each_fINS0_17counting_iteratorImNS0_11use_defaultES6_S6_EENS0_6detail16wrapped_functionI22mark_processed_functorIxEvEEEExLj1EEEvT0_T1_SF_.num_vgpr, 4
	.set _ZN6thrust23THRUST_200600_302600_NS11hip_rocprim14__parallel_for6kernelILj256ENS1_10for_each_fINS0_17counting_iteratorImNS0_11use_defaultES6_S6_EENS0_6detail16wrapped_functionI22mark_processed_functorIxEvEEEExLj1EEEvT0_T1_SF_.num_agpr, 0
	.set _ZN6thrust23THRUST_200600_302600_NS11hip_rocprim14__parallel_for6kernelILj256ENS1_10for_each_fINS0_17counting_iteratorImNS0_11use_defaultES6_S6_EENS0_6detail16wrapped_functionI22mark_processed_functorIxEvEEEExLj1EEEvT0_T1_SF_.numbered_sgpr, 16
	.set _ZN6thrust23THRUST_200600_302600_NS11hip_rocprim14__parallel_for6kernelILj256ENS1_10for_each_fINS0_17counting_iteratorImNS0_11use_defaultES6_S6_EENS0_6detail16wrapped_functionI22mark_processed_functorIxEvEEEExLj1EEEvT0_T1_SF_.num_named_barrier, 0
	.set _ZN6thrust23THRUST_200600_302600_NS11hip_rocprim14__parallel_for6kernelILj256ENS1_10for_each_fINS0_17counting_iteratorImNS0_11use_defaultES6_S6_EENS0_6detail16wrapped_functionI22mark_processed_functorIxEvEEEExLj1EEEvT0_T1_SF_.private_seg_size, 0
	.set _ZN6thrust23THRUST_200600_302600_NS11hip_rocprim14__parallel_for6kernelILj256ENS1_10for_each_fINS0_17counting_iteratorImNS0_11use_defaultES6_S6_EENS0_6detail16wrapped_functionI22mark_processed_functorIxEvEEEExLj1EEEvT0_T1_SF_.uses_vcc, 1
	.set _ZN6thrust23THRUST_200600_302600_NS11hip_rocprim14__parallel_for6kernelILj256ENS1_10for_each_fINS0_17counting_iteratorImNS0_11use_defaultES6_S6_EENS0_6detail16wrapped_functionI22mark_processed_functorIxEvEEEExLj1EEEvT0_T1_SF_.uses_flat_scratch, 0
	.set _ZN6thrust23THRUST_200600_302600_NS11hip_rocprim14__parallel_for6kernelILj256ENS1_10for_each_fINS0_17counting_iteratorImNS0_11use_defaultES6_S6_EENS0_6detail16wrapped_functionI22mark_processed_functorIxEvEEEExLj1EEEvT0_T1_SF_.has_dyn_sized_stack, 0
	.set _ZN6thrust23THRUST_200600_302600_NS11hip_rocprim14__parallel_for6kernelILj256ENS1_10for_each_fINS0_17counting_iteratorImNS0_11use_defaultES6_S6_EENS0_6detail16wrapped_functionI22mark_processed_functorIxEvEEEExLj1EEEvT0_T1_SF_.has_recursion, 0
	.set _ZN6thrust23THRUST_200600_302600_NS11hip_rocprim14__parallel_for6kernelILj256ENS1_10for_each_fINS0_17counting_iteratorImNS0_11use_defaultES6_S6_EENS0_6detail16wrapped_functionI22mark_processed_functorIxEvEEEExLj1EEEvT0_T1_SF_.has_indirect_call, 0
	.section	.AMDGPU.csdata,"",@progbits
; Kernel info:
; codeLenInByte = 220
; TotalNumSgprs: 20
; NumVgprs: 4
; ScratchSize: 0
; MemoryBound: 0
; FloatMode: 240
; IeeeMode: 1
; LDSByteSize: 0 bytes/workgroup (compile time only)
; SGPRBlocks: 2
; VGPRBlocks: 0
; NumSGPRsForWavesPerEU: 20
; NumVGPRsForWavesPerEU: 4
; Occupancy: 10
; WaveLimiterHint : 0
; COMPUTE_PGM_RSRC2:SCRATCH_EN: 0
; COMPUTE_PGM_RSRC2:USER_SGPR: 6
; COMPUTE_PGM_RSRC2:TRAP_HANDLER: 0
; COMPUTE_PGM_RSRC2:TGID_X_EN: 1
; COMPUTE_PGM_RSRC2:TGID_Y_EN: 0
; COMPUTE_PGM_RSRC2:TGID_Z_EN: 0
; COMPUTE_PGM_RSRC2:TIDIG_COMP_CNT: 0
	.section	.text._ZN6thrust23THRUST_200600_302600_NS11hip_rocprim14__parallel_for6kernelILj256ENS1_10for_each_fINS0_17counting_iteratorImNS0_11use_defaultES6_S6_EENS0_6detail16wrapped_functionI22mark_processed_functorIiEvEEEExLj1EEEvT0_T1_SF_,"axG",@progbits,_ZN6thrust23THRUST_200600_302600_NS11hip_rocprim14__parallel_for6kernelILj256ENS1_10for_each_fINS0_17counting_iteratorImNS0_11use_defaultES6_S6_EENS0_6detail16wrapped_functionI22mark_processed_functorIiEvEEEExLj1EEEvT0_T1_SF_,comdat
	.protected	_ZN6thrust23THRUST_200600_302600_NS11hip_rocprim14__parallel_for6kernelILj256ENS1_10for_each_fINS0_17counting_iteratorImNS0_11use_defaultES6_S6_EENS0_6detail16wrapped_functionI22mark_processed_functorIiEvEEEExLj1EEEvT0_T1_SF_ ; -- Begin function _ZN6thrust23THRUST_200600_302600_NS11hip_rocprim14__parallel_for6kernelILj256ENS1_10for_each_fINS0_17counting_iteratorImNS0_11use_defaultES6_S6_EENS0_6detail16wrapped_functionI22mark_processed_functorIiEvEEEExLj1EEEvT0_T1_SF_
	.globl	_ZN6thrust23THRUST_200600_302600_NS11hip_rocprim14__parallel_for6kernelILj256ENS1_10for_each_fINS0_17counting_iteratorImNS0_11use_defaultES6_S6_EENS0_6detail16wrapped_functionI22mark_processed_functorIiEvEEEExLj1EEEvT0_T1_SF_
	.p2align	8
	.type	_ZN6thrust23THRUST_200600_302600_NS11hip_rocprim14__parallel_for6kernelILj256ENS1_10for_each_fINS0_17counting_iteratorImNS0_11use_defaultES6_S6_EENS0_6detail16wrapped_functionI22mark_processed_functorIiEvEEEExLj1EEEvT0_T1_SF_,@function
_ZN6thrust23THRUST_200600_302600_NS11hip_rocprim14__parallel_for6kernelILj256ENS1_10for_each_fINS0_17counting_iteratorImNS0_11use_defaultES6_S6_EENS0_6detail16wrapped_functionI22mark_processed_functorIiEvEEEExLj1EEEvT0_T1_SF_: ; @_ZN6thrust23THRUST_200600_302600_NS11hip_rocprim14__parallel_for6kernelILj256ENS1_10for_each_fINS0_17counting_iteratorImNS0_11use_defaultES6_S6_EENS0_6detail16wrapped_functionI22mark_processed_functorIiEvEEEExLj1EEEvT0_T1_SF_
; %bb.0:
	s_load_dwordx8 s[8:15], s[4:5], 0x0
	s_lshl_b32 s0, s6, 8
	v_mov_b32_e32 v1, 0x100
	v_mov_b32_e32 v2, 0
	s_waitcnt lgkmcnt(0)
	s_add_u32 s2, s14, s0
	s_addc_u32 s3, s15, 0
	s_sub_u32 s0, s12, s2
	s_subb_u32 s1, s13, s3
	v_cmp_lt_i64_e32 vcc, s[0:1], v[1:2]
	s_and_b64 s[4:5], vcc, exec
	s_cselect_b32 s0, s0, 0x100
	s_cmpk_eq_i32 s0, 0x100
	s_cbranch_scc1 .LBB1_4
; %bb.1:
	v_cmp_gt_u32_e32 vcc, s0, v0
	s_mov_b64 s[4:5], 0
	s_mov_b64 s[0:1], 0
                                        ; implicit-def: $vgpr1_vgpr2
	s_and_saveexec_b64 s[6:7], vcc
; %bb.2:
	s_lshl_b64 s[12:13], s[2:3], 2
	s_add_u32 s12, s10, s12
	s_addc_u32 s13, s11, s13
	v_lshlrev_b32_e32 v1, 2, v0
	v_mov_b32_e32 v2, s13
	v_add_co_u32_e32 v1, vcc, s12, v1
	s_mov_b64 s[0:1], exec
	v_addc_co_u32_e32 v2, vcc, 0, v2, vcc
; %bb.3:
	s_or_b64 exec, exec, s[6:7]
	s_and_b64 vcc, exec, s[4:5]
	s_cbranch_vccnz .LBB1_5
	s_branch .LBB1_6
.LBB1_4:
	s_mov_b64 s[0:1], 0
                                        ; implicit-def: $vgpr1_vgpr2
	s_cbranch_execz .LBB1_6
.LBB1_5:
	s_lshl_b64 s[2:3], s[2:3], 2
	s_add_u32 s2, s10, s2
	s_addc_u32 s3, s11, s3
	v_lshlrev_b32_e32 v0, 2, v0
	v_mov_b32_e32 v2, s3
	v_add_co_u32_e32 v1, vcc, s2, v0
	v_addc_co_u32_e32 v2, vcc, 0, v2, vcc
	s_or_b64 s[0:1], s[0:1], exec
.LBB1_6:
	s_and_saveexec_b64 s[2:3], s[0:1]
	s_cbranch_execnz .LBB1_8
; %bb.7:
	s_endpgm
.LBB1_8:
	s_lshl_b64 s[0:1], s[8:9], 2
	v_mov_b32_e32 v3, s1
	v_add_co_u32_e32 v0, vcc, s0, v1
	v_addc_co_u32_e32 v1, vcc, v2, v3, vcc
	v_mov_b32_e32 v2, 1
	global_store_dword v[0:1], v2, off
	s_endpgm
	.section	.rodata,"a",@progbits
	.p2align	6, 0x0
	.amdhsa_kernel _ZN6thrust23THRUST_200600_302600_NS11hip_rocprim14__parallel_for6kernelILj256ENS1_10for_each_fINS0_17counting_iteratorImNS0_11use_defaultES6_S6_EENS0_6detail16wrapped_functionI22mark_processed_functorIiEvEEEExLj1EEEvT0_T1_SF_
		.amdhsa_group_segment_fixed_size 0
		.amdhsa_private_segment_fixed_size 0
		.amdhsa_kernarg_size 32
		.amdhsa_user_sgpr_count 6
		.amdhsa_user_sgpr_private_segment_buffer 1
		.amdhsa_user_sgpr_dispatch_ptr 0
		.amdhsa_user_sgpr_queue_ptr 0
		.amdhsa_user_sgpr_kernarg_segment_ptr 1
		.amdhsa_user_sgpr_dispatch_id 0
		.amdhsa_user_sgpr_flat_scratch_init 0
		.amdhsa_user_sgpr_private_segment_size 0
		.amdhsa_uses_dynamic_stack 0
		.amdhsa_system_sgpr_private_segment_wavefront_offset 0
		.amdhsa_system_sgpr_workgroup_id_x 1
		.amdhsa_system_sgpr_workgroup_id_y 0
		.amdhsa_system_sgpr_workgroup_id_z 0
		.amdhsa_system_sgpr_workgroup_info 0
		.amdhsa_system_vgpr_workitem_id 0
		.amdhsa_next_free_vgpr 4
		.amdhsa_next_free_sgpr 16
		.amdhsa_reserve_vcc 1
		.amdhsa_reserve_flat_scratch 0
		.amdhsa_float_round_mode_32 0
		.amdhsa_float_round_mode_16_64 0
		.amdhsa_float_denorm_mode_32 3
		.amdhsa_float_denorm_mode_16_64 3
		.amdhsa_dx10_clamp 1
		.amdhsa_ieee_mode 1
		.amdhsa_fp16_overflow 0
		.amdhsa_exception_fp_ieee_invalid_op 0
		.amdhsa_exception_fp_denorm_src 0
		.amdhsa_exception_fp_ieee_div_zero 0
		.amdhsa_exception_fp_ieee_overflow 0
		.amdhsa_exception_fp_ieee_underflow 0
		.amdhsa_exception_fp_ieee_inexact 0
		.amdhsa_exception_int_div_zero 0
	.end_amdhsa_kernel
	.section	.text._ZN6thrust23THRUST_200600_302600_NS11hip_rocprim14__parallel_for6kernelILj256ENS1_10for_each_fINS0_17counting_iteratorImNS0_11use_defaultES6_S6_EENS0_6detail16wrapped_functionI22mark_processed_functorIiEvEEEExLj1EEEvT0_T1_SF_,"axG",@progbits,_ZN6thrust23THRUST_200600_302600_NS11hip_rocprim14__parallel_for6kernelILj256ENS1_10for_each_fINS0_17counting_iteratorImNS0_11use_defaultES6_S6_EENS0_6detail16wrapped_functionI22mark_processed_functorIiEvEEEExLj1EEEvT0_T1_SF_,comdat
.Lfunc_end1:
	.size	_ZN6thrust23THRUST_200600_302600_NS11hip_rocprim14__parallel_for6kernelILj256ENS1_10for_each_fINS0_17counting_iteratorImNS0_11use_defaultES6_S6_EENS0_6detail16wrapped_functionI22mark_processed_functorIiEvEEEExLj1EEEvT0_T1_SF_, .Lfunc_end1-_ZN6thrust23THRUST_200600_302600_NS11hip_rocprim14__parallel_for6kernelILj256ENS1_10for_each_fINS0_17counting_iteratorImNS0_11use_defaultES6_S6_EENS0_6detail16wrapped_functionI22mark_processed_functorIiEvEEEExLj1EEEvT0_T1_SF_
                                        ; -- End function
	.set _ZN6thrust23THRUST_200600_302600_NS11hip_rocprim14__parallel_for6kernelILj256ENS1_10for_each_fINS0_17counting_iteratorImNS0_11use_defaultES6_S6_EENS0_6detail16wrapped_functionI22mark_processed_functorIiEvEEEExLj1EEEvT0_T1_SF_.num_vgpr, 4
	.set _ZN6thrust23THRUST_200600_302600_NS11hip_rocprim14__parallel_for6kernelILj256ENS1_10for_each_fINS0_17counting_iteratorImNS0_11use_defaultES6_S6_EENS0_6detail16wrapped_functionI22mark_processed_functorIiEvEEEExLj1EEEvT0_T1_SF_.num_agpr, 0
	.set _ZN6thrust23THRUST_200600_302600_NS11hip_rocprim14__parallel_for6kernelILj256ENS1_10for_each_fINS0_17counting_iteratorImNS0_11use_defaultES6_S6_EENS0_6detail16wrapped_functionI22mark_processed_functorIiEvEEEExLj1EEEvT0_T1_SF_.numbered_sgpr, 16
	.set _ZN6thrust23THRUST_200600_302600_NS11hip_rocprim14__parallel_for6kernelILj256ENS1_10for_each_fINS0_17counting_iteratorImNS0_11use_defaultES6_S6_EENS0_6detail16wrapped_functionI22mark_processed_functorIiEvEEEExLj1EEEvT0_T1_SF_.num_named_barrier, 0
	.set _ZN6thrust23THRUST_200600_302600_NS11hip_rocprim14__parallel_for6kernelILj256ENS1_10for_each_fINS0_17counting_iteratorImNS0_11use_defaultES6_S6_EENS0_6detail16wrapped_functionI22mark_processed_functorIiEvEEEExLj1EEEvT0_T1_SF_.private_seg_size, 0
	.set _ZN6thrust23THRUST_200600_302600_NS11hip_rocprim14__parallel_for6kernelILj256ENS1_10for_each_fINS0_17counting_iteratorImNS0_11use_defaultES6_S6_EENS0_6detail16wrapped_functionI22mark_processed_functorIiEvEEEExLj1EEEvT0_T1_SF_.uses_vcc, 1
	.set _ZN6thrust23THRUST_200600_302600_NS11hip_rocprim14__parallel_for6kernelILj256ENS1_10for_each_fINS0_17counting_iteratorImNS0_11use_defaultES6_S6_EENS0_6detail16wrapped_functionI22mark_processed_functorIiEvEEEExLj1EEEvT0_T1_SF_.uses_flat_scratch, 0
	.set _ZN6thrust23THRUST_200600_302600_NS11hip_rocprim14__parallel_for6kernelILj256ENS1_10for_each_fINS0_17counting_iteratorImNS0_11use_defaultES6_S6_EENS0_6detail16wrapped_functionI22mark_processed_functorIiEvEEEExLj1EEEvT0_T1_SF_.has_dyn_sized_stack, 0
	.set _ZN6thrust23THRUST_200600_302600_NS11hip_rocprim14__parallel_for6kernelILj256ENS1_10for_each_fINS0_17counting_iteratorImNS0_11use_defaultES6_S6_EENS0_6detail16wrapped_functionI22mark_processed_functorIiEvEEEExLj1EEEvT0_T1_SF_.has_recursion, 0
	.set _ZN6thrust23THRUST_200600_302600_NS11hip_rocprim14__parallel_for6kernelILj256ENS1_10for_each_fINS0_17counting_iteratorImNS0_11use_defaultES6_S6_EENS0_6detail16wrapped_functionI22mark_processed_functorIiEvEEEExLj1EEEvT0_T1_SF_.has_indirect_call, 0
	.section	.AMDGPU.csdata,"",@progbits
; Kernel info:
; codeLenInByte = 216
; TotalNumSgprs: 20
; NumVgprs: 4
; ScratchSize: 0
; MemoryBound: 0
; FloatMode: 240
; IeeeMode: 1
; LDSByteSize: 0 bytes/workgroup (compile time only)
; SGPRBlocks: 2
; VGPRBlocks: 0
; NumSGPRsForWavesPerEU: 20
; NumVGPRsForWavesPerEU: 4
; Occupancy: 10
; WaveLimiterHint : 0
; COMPUTE_PGM_RSRC2:SCRATCH_EN: 0
; COMPUTE_PGM_RSRC2:USER_SGPR: 6
; COMPUTE_PGM_RSRC2:TRAP_HANDLER: 0
; COMPUTE_PGM_RSRC2:TGID_X_EN: 1
; COMPUTE_PGM_RSRC2:TGID_Y_EN: 0
; COMPUTE_PGM_RSRC2:TGID_Z_EN: 0
; COMPUTE_PGM_RSRC2:TIDIG_COMP_CNT: 0
	.section	.text._ZN6thrust23THRUST_200600_302600_NS11hip_rocprim14__parallel_for6kernelILj256ENS1_10for_each_fINS0_17counting_iteratorImNS0_11use_defaultES6_S6_EENS0_6detail16wrapped_functionI22mark_processed_functorIsEvEEEExLj1EEEvT0_T1_SF_,"axG",@progbits,_ZN6thrust23THRUST_200600_302600_NS11hip_rocprim14__parallel_for6kernelILj256ENS1_10for_each_fINS0_17counting_iteratorImNS0_11use_defaultES6_S6_EENS0_6detail16wrapped_functionI22mark_processed_functorIsEvEEEExLj1EEEvT0_T1_SF_,comdat
	.protected	_ZN6thrust23THRUST_200600_302600_NS11hip_rocprim14__parallel_for6kernelILj256ENS1_10for_each_fINS0_17counting_iteratorImNS0_11use_defaultES6_S6_EENS0_6detail16wrapped_functionI22mark_processed_functorIsEvEEEExLj1EEEvT0_T1_SF_ ; -- Begin function _ZN6thrust23THRUST_200600_302600_NS11hip_rocprim14__parallel_for6kernelILj256ENS1_10for_each_fINS0_17counting_iteratorImNS0_11use_defaultES6_S6_EENS0_6detail16wrapped_functionI22mark_processed_functorIsEvEEEExLj1EEEvT0_T1_SF_
	.globl	_ZN6thrust23THRUST_200600_302600_NS11hip_rocprim14__parallel_for6kernelILj256ENS1_10for_each_fINS0_17counting_iteratorImNS0_11use_defaultES6_S6_EENS0_6detail16wrapped_functionI22mark_processed_functorIsEvEEEExLj1EEEvT0_T1_SF_
	.p2align	8
	.type	_ZN6thrust23THRUST_200600_302600_NS11hip_rocprim14__parallel_for6kernelILj256ENS1_10for_each_fINS0_17counting_iteratorImNS0_11use_defaultES6_S6_EENS0_6detail16wrapped_functionI22mark_processed_functorIsEvEEEExLj1EEEvT0_T1_SF_,@function
_ZN6thrust23THRUST_200600_302600_NS11hip_rocprim14__parallel_for6kernelILj256ENS1_10for_each_fINS0_17counting_iteratorImNS0_11use_defaultES6_S6_EENS0_6detail16wrapped_functionI22mark_processed_functorIsEvEEEExLj1EEEvT0_T1_SF_: ; @_ZN6thrust23THRUST_200600_302600_NS11hip_rocprim14__parallel_for6kernelILj256ENS1_10for_each_fINS0_17counting_iteratorImNS0_11use_defaultES6_S6_EENS0_6detail16wrapped_functionI22mark_processed_functorIsEvEEEExLj1EEEvT0_T1_SF_
; %bb.0:
	s_load_dwordx8 s[8:15], s[4:5], 0x0
	s_lshl_b32 s0, s6, 8
	v_mov_b32_e32 v1, 0x100
	v_mov_b32_e32 v2, 0
	s_waitcnt lgkmcnt(0)
	s_add_u32 s2, s14, s0
	s_addc_u32 s3, s15, 0
	s_sub_u32 s0, s12, s2
	s_subb_u32 s1, s13, s3
	v_cmp_lt_i64_e32 vcc, s[0:1], v[1:2]
	s_and_b64 s[4:5], vcc, exec
	s_cselect_b32 s0, s0, 0x100
	s_cmpk_eq_i32 s0, 0x100
	s_cbranch_scc1 .LBB2_4
; %bb.1:
	v_cmp_gt_u32_e32 vcc, s0, v0
	s_mov_b64 s[4:5], 0
	s_mov_b64 s[0:1], 0
                                        ; implicit-def: $vgpr1_vgpr2
	s_and_saveexec_b64 s[6:7], vcc
; %bb.2:
	s_lshl_b64 s[12:13], s[2:3], 1
	s_add_u32 s12, s10, s12
	s_addc_u32 s13, s11, s13
	v_lshlrev_b32_e32 v1, 1, v0
	v_mov_b32_e32 v2, s13
	v_add_co_u32_e32 v1, vcc, s12, v1
	s_mov_b64 s[0:1], exec
	v_addc_co_u32_e32 v2, vcc, 0, v2, vcc
; %bb.3:
	s_or_b64 exec, exec, s[6:7]
	s_and_b64 vcc, exec, s[4:5]
	s_cbranch_vccnz .LBB2_5
	s_branch .LBB2_6
.LBB2_4:
	s_mov_b64 s[0:1], 0
                                        ; implicit-def: $vgpr1_vgpr2
	s_cbranch_execz .LBB2_6
.LBB2_5:
	s_lshl_b64 s[2:3], s[2:3], 1
	s_add_u32 s2, s10, s2
	s_addc_u32 s3, s11, s3
	v_lshlrev_b32_e32 v0, 1, v0
	v_mov_b32_e32 v2, s3
	v_add_co_u32_e32 v1, vcc, s2, v0
	v_addc_co_u32_e32 v2, vcc, 0, v2, vcc
	s_or_b64 s[0:1], s[0:1], exec
.LBB2_6:
	s_and_saveexec_b64 s[2:3], s[0:1]
	s_cbranch_execnz .LBB2_8
; %bb.7:
	s_endpgm
.LBB2_8:
	s_lshl_b64 s[0:1], s[8:9], 1
	v_mov_b32_e32 v3, s1
	v_add_co_u32_e32 v0, vcc, s0, v1
	v_addc_co_u32_e32 v1, vcc, v2, v3, vcc
	v_mov_b32_e32 v2, 1
	global_store_short v[0:1], v2, off
	s_endpgm
	.section	.rodata,"a",@progbits
	.p2align	6, 0x0
	.amdhsa_kernel _ZN6thrust23THRUST_200600_302600_NS11hip_rocprim14__parallel_for6kernelILj256ENS1_10for_each_fINS0_17counting_iteratorImNS0_11use_defaultES6_S6_EENS0_6detail16wrapped_functionI22mark_processed_functorIsEvEEEExLj1EEEvT0_T1_SF_
		.amdhsa_group_segment_fixed_size 0
		.amdhsa_private_segment_fixed_size 0
		.amdhsa_kernarg_size 32
		.amdhsa_user_sgpr_count 6
		.amdhsa_user_sgpr_private_segment_buffer 1
		.amdhsa_user_sgpr_dispatch_ptr 0
		.amdhsa_user_sgpr_queue_ptr 0
		.amdhsa_user_sgpr_kernarg_segment_ptr 1
		.amdhsa_user_sgpr_dispatch_id 0
		.amdhsa_user_sgpr_flat_scratch_init 0
		.amdhsa_user_sgpr_private_segment_size 0
		.amdhsa_uses_dynamic_stack 0
		.amdhsa_system_sgpr_private_segment_wavefront_offset 0
		.amdhsa_system_sgpr_workgroup_id_x 1
		.amdhsa_system_sgpr_workgroup_id_y 0
		.amdhsa_system_sgpr_workgroup_id_z 0
		.amdhsa_system_sgpr_workgroup_info 0
		.amdhsa_system_vgpr_workitem_id 0
		.amdhsa_next_free_vgpr 4
		.amdhsa_next_free_sgpr 16
		.amdhsa_reserve_vcc 1
		.amdhsa_reserve_flat_scratch 0
		.amdhsa_float_round_mode_32 0
		.amdhsa_float_round_mode_16_64 0
		.amdhsa_float_denorm_mode_32 3
		.amdhsa_float_denorm_mode_16_64 3
		.amdhsa_dx10_clamp 1
		.amdhsa_ieee_mode 1
		.amdhsa_fp16_overflow 0
		.amdhsa_exception_fp_ieee_invalid_op 0
		.amdhsa_exception_fp_denorm_src 0
		.amdhsa_exception_fp_ieee_div_zero 0
		.amdhsa_exception_fp_ieee_overflow 0
		.amdhsa_exception_fp_ieee_underflow 0
		.amdhsa_exception_fp_ieee_inexact 0
		.amdhsa_exception_int_div_zero 0
	.end_amdhsa_kernel
	.section	.text._ZN6thrust23THRUST_200600_302600_NS11hip_rocprim14__parallel_for6kernelILj256ENS1_10for_each_fINS0_17counting_iteratorImNS0_11use_defaultES6_S6_EENS0_6detail16wrapped_functionI22mark_processed_functorIsEvEEEExLj1EEEvT0_T1_SF_,"axG",@progbits,_ZN6thrust23THRUST_200600_302600_NS11hip_rocprim14__parallel_for6kernelILj256ENS1_10for_each_fINS0_17counting_iteratorImNS0_11use_defaultES6_S6_EENS0_6detail16wrapped_functionI22mark_processed_functorIsEvEEEExLj1EEEvT0_T1_SF_,comdat
.Lfunc_end2:
	.size	_ZN6thrust23THRUST_200600_302600_NS11hip_rocprim14__parallel_for6kernelILj256ENS1_10for_each_fINS0_17counting_iteratorImNS0_11use_defaultES6_S6_EENS0_6detail16wrapped_functionI22mark_processed_functorIsEvEEEExLj1EEEvT0_T1_SF_, .Lfunc_end2-_ZN6thrust23THRUST_200600_302600_NS11hip_rocprim14__parallel_for6kernelILj256ENS1_10for_each_fINS0_17counting_iteratorImNS0_11use_defaultES6_S6_EENS0_6detail16wrapped_functionI22mark_processed_functorIsEvEEEExLj1EEEvT0_T1_SF_
                                        ; -- End function
	.set _ZN6thrust23THRUST_200600_302600_NS11hip_rocprim14__parallel_for6kernelILj256ENS1_10for_each_fINS0_17counting_iteratorImNS0_11use_defaultES6_S6_EENS0_6detail16wrapped_functionI22mark_processed_functorIsEvEEEExLj1EEEvT0_T1_SF_.num_vgpr, 4
	.set _ZN6thrust23THRUST_200600_302600_NS11hip_rocprim14__parallel_for6kernelILj256ENS1_10for_each_fINS0_17counting_iteratorImNS0_11use_defaultES6_S6_EENS0_6detail16wrapped_functionI22mark_processed_functorIsEvEEEExLj1EEEvT0_T1_SF_.num_agpr, 0
	.set _ZN6thrust23THRUST_200600_302600_NS11hip_rocprim14__parallel_for6kernelILj256ENS1_10for_each_fINS0_17counting_iteratorImNS0_11use_defaultES6_S6_EENS0_6detail16wrapped_functionI22mark_processed_functorIsEvEEEExLj1EEEvT0_T1_SF_.numbered_sgpr, 16
	.set _ZN6thrust23THRUST_200600_302600_NS11hip_rocprim14__parallel_for6kernelILj256ENS1_10for_each_fINS0_17counting_iteratorImNS0_11use_defaultES6_S6_EENS0_6detail16wrapped_functionI22mark_processed_functorIsEvEEEExLj1EEEvT0_T1_SF_.num_named_barrier, 0
	.set _ZN6thrust23THRUST_200600_302600_NS11hip_rocprim14__parallel_for6kernelILj256ENS1_10for_each_fINS0_17counting_iteratorImNS0_11use_defaultES6_S6_EENS0_6detail16wrapped_functionI22mark_processed_functorIsEvEEEExLj1EEEvT0_T1_SF_.private_seg_size, 0
	.set _ZN6thrust23THRUST_200600_302600_NS11hip_rocprim14__parallel_for6kernelILj256ENS1_10for_each_fINS0_17counting_iteratorImNS0_11use_defaultES6_S6_EENS0_6detail16wrapped_functionI22mark_processed_functorIsEvEEEExLj1EEEvT0_T1_SF_.uses_vcc, 1
	.set _ZN6thrust23THRUST_200600_302600_NS11hip_rocprim14__parallel_for6kernelILj256ENS1_10for_each_fINS0_17counting_iteratorImNS0_11use_defaultES6_S6_EENS0_6detail16wrapped_functionI22mark_processed_functorIsEvEEEExLj1EEEvT0_T1_SF_.uses_flat_scratch, 0
	.set _ZN6thrust23THRUST_200600_302600_NS11hip_rocprim14__parallel_for6kernelILj256ENS1_10for_each_fINS0_17counting_iteratorImNS0_11use_defaultES6_S6_EENS0_6detail16wrapped_functionI22mark_processed_functorIsEvEEEExLj1EEEvT0_T1_SF_.has_dyn_sized_stack, 0
	.set _ZN6thrust23THRUST_200600_302600_NS11hip_rocprim14__parallel_for6kernelILj256ENS1_10for_each_fINS0_17counting_iteratorImNS0_11use_defaultES6_S6_EENS0_6detail16wrapped_functionI22mark_processed_functorIsEvEEEExLj1EEEvT0_T1_SF_.has_recursion, 0
	.set _ZN6thrust23THRUST_200600_302600_NS11hip_rocprim14__parallel_for6kernelILj256ENS1_10for_each_fINS0_17counting_iteratorImNS0_11use_defaultES6_S6_EENS0_6detail16wrapped_functionI22mark_processed_functorIsEvEEEExLj1EEEvT0_T1_SF_.has_indirect_call, 0
	.section	.AMDGPU.csdata,"",@progbits
; Kernel info:
; codeLenInByte = 216
; TotalNumSgprs: 20
; NumVgprs: 4
; ScratchSize: 0
; MemoryBound: 0
; FloatMode: 240
; IeeeMode: 1
; LDSByteSize: 0 bytes/workgroup (compile time only)
; SGPRBlocks: 2
; VGPRBlocks: 0
; NumSGPRsForWavesPerEU: 20
; NumVGPRsForWavesPerEU: 4
; Occupancy: 10
; WaveLimiterHint : 0
; COMPUTE_PGM_RSRC2:SCRATCH_EN: 0
; COMPUTE_PGM_RSRC2:USER_SGPR: 6
; COMPUTE_PGM_RSRC2:TRAP_HANDLER: 0
; COMPUTE_PGM_RSRC2:TGID_X_EN: 1
; COMPUTE_PGM_RSRC2:TGID_Y_EN: 0
; COMPUTE_PGM_RSRC2:TGID_Z_EN: 0
; COMPUTE_PGM_RSRC2:TIDIG_COMP_CNT: 0
	.section	.text._Z18simple_test_kernelI22mark_processed_functorIxEEvT_i,"axG",@progbits,_Z18simple_test_kernelI22mark_processed_functorIxEEvT_i,comdat
	.protected	_Z18simple_test_kernelI22mark_processed_functorIxEEvT_i ; -- Begin function _Z18simple_test_kernelI22mark_processed_functorIxEEvT_i
	.globl	_Z18simple_test_kernelI22mark_processed_functorIxEEvT_i
	.p2align	8
	.type	_Z18simple_test_kernelI22mark_processed_functorIxEEvT_i,@function
_Z18simple_test_kernelI22mark_processed_functorIxEEvT_i: ; @_Z18simple_test_kernelI22mark_processed_functorIxEEvT_i
; %bb.0:
	s_load_dword s0, s[4:5], 0x8
	s_waitcnt lgkmcnt(0)
	s_cmp_eq_u32 s0, 0
	s_cbranch_scc1 .LBB3_3
; %bb.1:
	s_load_dwordx2 s[2:3], s[4:5], 0x0
	s_ashr_i32 s1, s0, 31
	s_mov_b64 s[4:5], 0
	v_mov_b32_e32 v1, 0
	v_mov_b32_e32 v0, 1
.LBB3_2:                                ; =>This Inner Loop Header: Depth=1
	s_ashr_i64 s[6:7], s[4:5], 29
	s_waitcnt lgkmcnt(0)
	s_add_u32 s6, s2, s6
	s_addc_u32 s7, s3, s7
	s_add_i32 s5, s5, 1
	s_add_u32 s0, s0, -1
	s_addc_u32 s1, s1, -1
	s_cmp_lg_u64 s[0:1], 0
	global_store_dwordx2 v1, v[0:1], s[6:7]
	s_cbranch_scc1 .LBB3_2
.LBB3_3:
	s_endpgm
	.section	.rodata,"a",@progbits
	.p2align	6, 0x0
	.amdhsa_kernel _Z18simple_test_kernelI22mark_processed_functorIxEEvT_i
		.amdhsa_group_segment_fixed_size 0
		.amdhsa_private_segment_fixed_size 0
		.amdhsa_kernarg_size 12
		.amdhsa_user_sgpr_count 6
		.amdhsa_user_sgpr_private_segment_buffer 1
		.amdhsa_user_sgpr_dispatch_ptr 0
		.amdhsa_user_sgpr_queue_ptr 0
		.amdhsa_user_sgpr_kernarg_segment_ptr 1
		.amdhsa_user_sgpr_dispatch_id 0
		.amdhsa_user_sgpr_flat_scratch_init 0
		.amdhsa_user_sgpr_private_segment_size 0
		.amdhsa_uses_dynamic_stack 0
		.amdhsa_system_sgpr_private_segment_wavefront_offset 0
		.amdhsa_system_sgpr_workgroup_id_x 1
		.amdhsa_system_sgpr_workgroup_id_y 0
		.amdhsa_system_sgpr_workgroup_id_z 0
		.amdhsa_system_sgpr_workgroup_info 0
		.amdhsa_system_vgpr_workitem_id 0
		.amdhsa_next_free_vgpr 2
		.amdhsa_next_free_sgpr 8
		.amdhsa_reserve_vcc 0
		.amdhsa_reserve_flat_scratch 0
		.amdhsa_float_round_mode_32 0
		.amdhsa_float_round_mode_16_64 0
		.amdhsa_float_denorm_mode_32 3
		.amdhsa_float_denorm_mode_16_64 3
		.amdhsa_dx10_clamp 1
		.amdhsa_ieee_mode 1
		.amdhsa_fp16_overflow 0
		.amdhsa_exception_fp_ieee_invalid_op 0
		.amdhsa_exception_fp_denorm_src 0
		.amdhsa_exception_fp_ieee_div_zero 0
		.amdhsa_exception_fp_ieee_overflow 0
		.amdhsa_exception_fp_ieee_underflow 0
		.amdhsa_exception_fp_ieee_inexact 0
		.amdhsa_exception_int_div_zero 0
	.end_amdhsa_kernel
	.section	.text._Z18simple_test_kernelI22mark_processed_functorIxEEvT_i,"axG",@progbits,_Z18simple_test_kernelI22mark_processed_functorIxEEvT_i,comdat
.Lfunc_end3:
	.size	_Z18simple_test_kernelI22mark_processed_functorIxEEvT_i, .Lfunc_end3-_Z18simple_test_kernelI22mark_processed_functorIxEEvT_i
                                        ; -- End function
	.set _Z18simple_test_kernelI22mark_processed_functorIxEEvT_i.num_vgpr, 2
	.set _Z18simple_test_kernelI22mark_processed_functorIxEEvT_i.num_agpr, 0
	.set _Z18simple_test_kernelI22mark_processed_functorIxEEvT_i.numbered_sgpr, 8
	.set _Z18simple_test_kernelI22mark_processed_functorIxEEvT_i.num_named_barrier, 0
	.set _Z18simple_test_kernelI22mark_processed_functorIxEEvT_i.private_seg_size, 0
	.set _Z18simple_test_kernelI22mark_processed_functorIxEEvT_i.uses_vcc, 0
	.set _Z18simple_test_kernelI22mark_processed_functorIxEEvT_i.uses_flat_scratch, 0
	.set _Z18simple_test_kernelI22mark_processed_functorIxEEvT_i.has_dyn_sized_stack, 0
	.set _Z18simple_test_kernelI22mark_processed_functorIxEEvT_i.has_recursion, 0
	.set _Z18simple_test_kernelI22mark_processed_functorIxEEvT_i.has_indirect_call, 0
	.section	.AMDGPU.csdata,"",@progbits
; Kernel info:
; codeLenInByte = 92
; TotalNumSgprs: 12
; NumVgprs: 2
; ScratchSize: 0
; MemoryBound: 0
; FloatMode: 240
; IeeeMode: 1
; LDSByteSize: 0 bytes/workgroup (compile time only)
; SGPRBlocks: 1
; VGPRBlocks: 0
; NumSGPRsForWavesPerEU: 12
; NumVGPRsForWavesPerEU: 2
; Occupancy: 10
; WaveLimiterHint : 0
; COMPUTE_PGM_RSRC2:SCRATCH_EN: 0
; COMPUTE_PGM_RSRC2:USER_SGPR: 6
; COMPUTE_PGM_RSRC2:TRAP_HANDLER: 0
; COMPUTE_PGM_RSRC2:TGID_X_EN: 1
; COMPUTE_PGM_RSRC2:TGID_Y_EN: 0
; COMPUTE_PGM_RSRC2:TGID_Z_EN: 0
; COMPUTE_PGM_RSRC2:TIDIG_COMP_CNT: 0
	.section	.text._ZN6thrust23THRUST_200600_302600_NS11hip_rocprim14__parallel_for6kernelILj256ENS1_10for_each_fINS0_17counting_iteratorIiNS0_11use_defaultES6_S6_EENS0_6detail16wrapped_functionI22mark_processed_functorIxEvEEEElLj1EEEvT0_T1_SF_,"axG",@progbits,_ZN6thrust23THRUST_200600_302600_NS11hip_rocprim14__parallel_for6kernelILj256ENS1_10for_each_fINS0_17counting_iteratorIiNS0_11use_defaultES6_S6_EENS0_6detail16wrapped_functionI22mark_processed_functorIxEvEEEElLj1EEEvT0_T1_SF_,comdat
	.protected	_ZN6thrust23THRUST_200600_302600_NS11hip_rocprim14__parallel_for6kernelILj256ENS1_10for_each_fINS0_17counting_iteratorIiNS0_11use_defaultES6_S6_EENS0_6detail16wrapped_functionI22mark_processed_functorIxEvEEEElLj1EEEvT0_T1_SF_ ; -- Begin function _ZN6thrust23THRUST_200600_302600_NS11hip_rocprim14__parallel_for6kernelILj256ENS1_10for_each_fINS0_17counting_iteratorIiNS0_11use_defaultES6_S6_EENS0_6detail16wrapped_functionI22mark_processed_functorIxEvEEEElLj1EEEvT0_T1_SF_
	.globl	_ZN6thrust23THRUST_200600_302600_NS11hip_rocprim14__parallel_for6kernelILj256ENS1_10for_each_fINS0_17counting_iteratorIiNS0_11use_defaultES6_S6_EENS0_6detail16wrapped_functionI22mark_processed_functorIxEvEEEElLj1EEEvT0_T1_SF_
	.p2align	8
	.type	_ZN6thrust23THRUST_200600_302600_NS11hip_rocprim14__parallel_for6kernelILj256ENS1_10for_each_fINS0_17counting_iteratorIiNS0_11use_defaultES6_S6_EENS0_6detail16wrapped_functionI22mark_processed_functorIxEvEEEElLj1EEEvT0_T1_SF_,@function
_ZN6thrust23THRUST_200600_302600_NS11hip_rocprim14__parallel_for6kernelILj256ENS1_10for_each_fINS0_17counting_iteratorIiNS0_11use_defaultES6_S6_EENS0_6detail16wrapped_functionI22mark_processed_functorIxEvEEEElLj1EEEvT0_T1_SF_: ; @_ZN6thrust23THRUST_200600_302600_NS11hip_rocprim14__parallel_for6kernelILj256ENS1_10for_each_fINS0_17counting_iteratorIiNS0_11use_defaultES6_S6_EENS0_6detail16wrapped_functionI22mark_processed_functorIxEvEEEElLj1EEEvT0_T1_SF_
; %bb.0:
	s_load_dwordx4 s[8:11], s[4:5], 0x10
	s_lshl_b32 s0, s6, 8
	v_mov_b32_e32 v1, 0x100
	v_mov_b32_e32 v2, 0
	s_waitcnt lgkmcnt(0)
	s_add_u32 s0, s10, s0
	s_addc_u32 s1, s11, 0
	s_sub_u32 s2, s8, s0
	s_subb_u32 s3, s9, s1
	v_cmp_lt_i64_e32 vcc, s[2:3], v[1:2]
	s_and_b64 s[6:7], vcc, exec
	s_cselect_b32 s1, s2, 0x100
	s_cmpk_eq_i32 s1, 0x100
	s_cselect_b64 s[2:3], -1, 0
	v_cmp_gt_u32_e32 vcc, s1, v0
	s_or_b64 s[2:3], s[2:3], vcc
	s_and_saveexec_b64 s[6:7], s[2:3]
	s_cbranch_execz .LBB4_2
; %bb.1:
	s_load_dword s1, s[4:5], 0x0
	s_load_dwordx2 s[2:3], s[4:5], 0x8
	v_mov_b32_e32 v3, 0
	s_waitcnt lgkmcnt(0)
	s_add_i32 s1, s1, s0
	v_add_u32_e32 v0, s1, v0
	v_ashrrev_i32_e32 v1, 31, v0
	v_lshlrev_b64 v[0:1], 3, v[0:1]
	v_mov_b32_e32 v2, s3
	v_add_co_u32_e32 v0, vcc, s2, v0
	v_addc_co_u32_e32 v1, vcc, v2, v1, vcc
	v_mov_b32_e32 v2, 1
	global_store_dwordx2 v[0:1], v[2:3], off
.LBB4_2:
	s_endpgm
	.section	.rodata,"a",@progbits
	.p2align	6, 0x0
	.amdhsa_kernel _ZN6thrust23THRUST_200600_302600_NS11hip_rocprim14__parallel_for6kernelILj256ENS1_10for_each_fINS0_17counting_iteratorIiNS0_11use_defaultES6_S6_EENS0_6detail16wrapped_functionI22mark_processed_functorIxEvEEEElLj1EEEvT0_T1_SF_
		.amdhsa_group_segment_fixed_size 0
		.amdhsa_private_segment_fixed_size 0
		.amdhsa_kernarg_size 32
		.amdhsa_user_sgpr_count 6
		.amdhsa_user_sgpr_private_segment_buffer 1
		.amdhsa_user_sgpr_dispatch_ptr 0
		.amdhsa_user_sgpr_queue_ptr 0
		.amdhsa_user_sgpr_kernarg_segment_ptr 1
		.amdhsa_user_sgpr_dispatch_id 0
		.amdhsa_user_sgpr_flat_scratch_init 0
		.amdhsa_user_sgpr_private_segment_size 0
		.amdhsa_uses_dynamic_stack 0
		.amdhsa_system_sgpr_private_segment_wavefront_offset 0
		.amdhsa_system_sgpr_workgroup_id_x 1
		.amdhsa_system_sgpr_workgroup_id_y 0
		.amdhsa_system_sgpr_workgroup_id_z 0
		.amdhsa_system_sgpr_workgroup_info 0
		.amdhsa_system_vgpr_workitem_id 0
		.amdhsa_next_free_vgpr 4
		.amdhsa_next_free_sgpr 12
		.amdhsa_reserve_vcc 1
		.amdhsa_reserve_flat_scratch 0
		.amdhsa_float_round_mode_32 0
		.amdhsa_float_round_mode_16_64 0
		.amdhsa_float_denorm_mode_32 3
		.amdhsa_float_denorm_mode_16_64 3
		.amdhsa_dx10_clamp 1
		.amdhsa_ieee_mode 1
		.amdhsa_fp16_overflow 0
		.amdhsa_exception_fp_ieee_invalid_op 0
		.amdhsa_exception_fp_denorm_src 0
		.amdhsa_exception_fp_ieee_div_zero 0
		.amdhsa_exception_fp_ieee_overflow 0
		.amdhsa_exception_fp_ieee_underflow 0
		.amdhsa_exception_fp_ieee_inexact 0
		.amdhsa_exception_int_div_zero 0
	.end_amdhsa_kernel
	.section	.text._ZN6thrust23THRUST_200600_302600_NS11hip_rocprim14__parallel_for6kernelILj256ENS1_10for_each_fINS0_17counting_iteratorIiNS0_11use_defaultES6_S6_EENS0_6detail16wrapped_functionI22mark_processed_functorIxEvEEEElLj1EEEvT0_T1_SF_,"axG",@progbits,_ZN6thrust23THRUST_200600_302600_NS11hip_rocprim14__parallel_for6kernelILj256ENS1_10for_each_fINS0_17counting_iteratorIiNS0_11use_defaultES6_S6_EENS0_6detail16wrapped_functionI22mark_processed_functorIxEvEEEElLj1EEEvT0_T1_SF_,comdat
.Lfunc_end4:
	.size	_ZN6thrust23THRUST_200600_302600_NS11hip_rocprim14__parallel_for6kernelILj256ENS1_10for_each_fINS0_17counting_iteratorIiNS0_11use_defaultES6_S6_EENS0_6detail16wrapped_functionI22mark_processed_functorIxEvEEEElLj1EEEvT0_T1_SF_, .Lfunc_end4-_ZN6thrust23THRUST_200600_302600_NS11hip_rocprim14__parallel_for6kernelILj256ENS1_10for_each_fINS0_17counting_iteratorIiNS0_11use_defaultES6_S6_EENS0_6detail16wrapped_functionI22mark_processed_functorIxEvEEEElLj1EEEvT0_T1_SF_
                                        ; -- End function
	.set _ZN6thrust23THRUST_200600_302600_NS11hip_rocprim14__parallel_for6kernelILj256ENS1_10for_each_fINS0_17counting_iteratorIiNS0_11use_defaultES6_S6_EENS0_6detail16wrapped_functionI22mark_processed_functorIxEvEEEElLj1EEEvT0_T1_SF_.num_vgpr, 4
	.set _ZN6thrust23THRUST_200600_302600_NS11hip_rocprim14__parallel_for6kernelILj256ENS1_10for_each_fINS0_17counting_iteratorIiNS0_11use_defaultES6_S6_EENS0_6detail16wrapped_functionI22mark_processed_functorIxEvEEEElLj1EEEvT0_T1_SF_.num_agpr, 0
	.set _ZN6thrust23THRUST_200600_302600_NS11hip_rocprim14__parallel_for6kernelILj256ENS1_10for_each_fINS0_17counting_iteratorIiNS0_11use_defaultES6_S6_EENS0_6detail16wrapped_functionI22mark_processed_functorIxEvEEEElLj1EEEvT0_T1_SF_.numbered_sgpr, 12
	.set _ZN6thrust23THRUST_200600_302600_NS11hip_rocprim14__parallel_for6kernelILj256ENS1_10for_each_fINS0_17counting_iteratorIiNS0_11use_defaultES6_S6_EENS0_6detail16wrapped_functionI22mark_processed_functorIxEvEEEElLj1EEEvT0_T1_SF_.num_named_barrier, 0
	.set _ZN6thrust23THRUST_200600_302600_NS11hip_rocprim14__parallel_for6kernelILj256ENS1_10for_each_fINS0_17counting_iteratorIiNS0_11use_defaultES6_S6_EENS0_6detail16wrapped_functionI22mark_processed_functorIxEvEEEElLj1EEEvT0_T1_SF_.private_seg_size, 0
	.set _ZN6thrust23THRUST_200600_302600_NS11hip_rocprim14__parallel_for6kernelILj256ENS1_10for_each_fINS0_17counting_iteratorIiNS0_11use_defaultES6_S6_EENS0_6detail16wrapped_functionI22mark_processed_functorIxEvEEEElLj1EEEvT0_T1_SF_.uses_vcc, 1
	.set _ZN6thrust23THRUST_200600_302600_NS11hip_rocprim14__parallel_for6kernelILj256ENS1_10for_each_fINS0_17counting_iteratorIiNS0_11use_defaultES6_S6_EENS0_6detail16wrapped_functionI22mark_processed_functorIxEvEEEElLj1EEEvT0_T1_SF_.uses_flat_scratch, 0
	.set _ZN6thrust23THRUST_200600_302600_NS11hip_rocprim14__parallel_for6kernelILj256ENS1_10for_each_fINS0_17counting_iteratorIiNS0_11use_defaultES6_S6_EENS0_6detail16wrapped_functionI22mark_processed_functorIxEvEEEElLj1EEEvT0_T1_SF_.has_dyn_sized_stack, 0
	.set _ZN6thrust23THRUST_200600_302600_NS11hip_rocprim14__parallel_for6kernelILj256ENS1_10for_each_fINS0_17counting_iteratorIiNS0_11use_defaultES6_S6_EENS0_6detail16wrapped_functionI22mark_processed_functorIxEvEEEElLj1EEEvT0_T1_SF_.has_recursion, 0
	.set _ZN6thrust23THRUST_200600_302600_NS11hip_rocprim14__parallel_for6kernelILj256ENS1_10for_each_fINS0_17counting_iteratorIiNS0_11use_defaultES6_S6_EENS0_6detail16wrapped_functionI22mark_processed_functorIxEvEEEElLj1EEEvT0_T1_SF_.has_indirect_call, 0
	.section	.AMDGPU.csdata,"",@progbits
; Kernel info:
; codeLenInByte = 156
; TotalNumSgprs: 16
; NumVgprs: 4
; ScratchSize: 0
; MemoryBound: 0
; FloatMode: 240
; IeeeMode: 1
; LDSByteSize: 0 bytes/workgroup (compile time only)
; SGPRBlocks: 1
; VGPRBlocks: 0
; NumSGPRsForWavesPerEU: 16
; NumVGPRsForWavesPerEU: 4
; Occupancy: 10
; WaveLimiterHint : 0
; COMPUTE_PGM_RSRC2:SCRATCH_EN: 0
; COMPUTE_PGM_RSRC2:USER_SGPR: 6
; COMPUTE_PGM_RSRC2:TRAP_HANDLER: 0
; COMPUTE_PGM_RSRC2:TGID_X_EN: 1
; COMPUTE_PGM_RSRC2:TGID_Y_EN: 0
; COMPUTE_PGM_RSRC2:TGID_Z_EN: 0
; COMPUTE_PGM_RSRC2:TIDIG_COMP_CNT: 0
	.section	.text._Z18simple_test_kernelI22mark_processed_functorIiEEvT_i,"axG",@progbits,_Z18simple_test_kernelI22mark_processed_functorIiEEvT_i,comdat
	.protected	_Z18simple_test_kernelI22mark_processed_functorIiEEvT_i ; -- Begin function _Z18simple_test_kernelI22mark_processed_functorIiEEvT_i
	.globl	_Z18simple_test_kernelI22mark_processed_functorIiEEvT_i
	.p2align	8
	.type	_Z18simple_test_kernelI22mark_processed_functorIiEEvT_i,@function
_Z18simple_test_kernelI22mark_processed_functorIiEEvT_i: ; @_Z18simple_test_kernelI22mark_processed_functorIiEEvT_i
; %bb.0:
	s_load_dword s0, s[4:5], 0x8
	s_waitcnt lgkmcnt(0)
	s_cmp_eq_u32 s0, 0
	s_cbranch_scc1 .LBB5_3
; %bb.1:
	s_load_dwordx2 s[2:3], s[4:5], 0x0
	s_ashr_i32 s1, s0, 31
	s_mov_b64 s[4:5], 0
	v_mov_b32_e32 v0, 0
	v_mov_b32_e32 v1, 1
.LBB5_2:                                ; =>This Inner Loop Header: Depth=1
	s_ashr_i64 s[6:7], s[4:5], 30
	s_waitcnt lgkmcnt(0)
	s_add_u32 s6, s2, s6
	s_addc_u32 s7, s3, s7
	s_add_i32 s5, s5, 1
	s_add_u32 s0, s0, -1
	s_addc_u32 s1, s1, -1
	s_cmp_lg_u64 s[0:1], 0
	global_store_dword v0, v1, s[6:7]
	s_cbranch_scc1 .LBB5_2
.LBB5_3:
	s_endpgm
	.section	.rodata,"a",@progbits
	.p2align	6, 0x0
	.amdhsa_kernel _Z18simple_test_kernelI22mark_processed_functorIiEEvT_i
		.amdhsa_group_segment_fixed_size 0
		.amdhsa_private_segment_fixed_size 0
		.amdhsa_kernarg_size 12
		.amdhsa_user_sgpr_count 6
		.amdhsa_user_sgpr_private_segment_buffer 1
		.amdhsa_user_sgpr_dispatch_ptr 0
		.amdhsa_user_sgpr_queue_ptr 0
		.amdhsa_user_sgpr_kernarg_segment_ptr 1
		.amdhsa_user_sgpr_dispatch_id 0
		.amdhsa_user_sgpr_flat_scratch_init 0
		.amdhsa_user_sgpr_private_segment_size 0
		.amdhsa_uses_dynamic_stack 0
		.amdhsa_system_sgpr_private_segment_wavefront_offset 0
		.amdhsa_system_sgpr_workgroup_id_x 1
		.amdhsa_system_sgpr_workgroup_id_y 0
		.amdhsa_system_sgpr_workgroup_id_z 0
		.amdhsa_system_sgpr_workgroup_info 0
		.amdhsa_system_vgpr_workitem_id 0
		.amdhsa_next_free_vgpr 2
		.amdhsa_next_free_sgpr 8
		.amdhsa_reserve_vcc 0
		.amdhsa_reserve_flat_scratch 0
		.amdhsa_float_round_mode_32 0
		.amdhsa_float_round_mode_16_64 0
		.amdhsa_float_denorm_mode_32 3
		.amdhsa_float_denorm_mode_16_64 3
		.amdhsa_dx10_clamp 1
		.amdhsa_ieee_mode 1
		.amdhsa_fp16_overflow 0
		.amdhsa_exception_fp_ieee_invalid_op 0
		.amdhsa_exception_fp_denorm_src 0
		.amdhsa_exception_fp_ieee_div_zero 0
		.amdhsa_exception_fp_ieee_overflow 0
		.amdhsa_exception_fp_ieee_underflow 0
		.amdhsa_exception_fp_ieee_inexact 0
		.amdhsa_exception_int_div_zero 0
	.end_amdhsa_kernel
	.section	.text._Z18simple_test_kernelI22mark_processed_functorIiEEvT_i,"axG",@progbits,_Z18simple_test_kernelI22mark_processed_functorIiEEvT_i,comdat
.Lfunc_end5:
	.size	_Z18simple_test_kernelI22mark_processed_functorIiEEvT_i, .Lfunc_end5-_Z18simple_test_kernelI22mark_processed_functorIiEEvT_i
                                        ; -- End function
	.set _Z18simple_test_kernelI22mark_processed_functorIiEEvT_i.num_vgpr, 2
	.set _Z18simple_test_kernelI22mark_processed_functorIiEEvT_i.num_agpr, 0
	.set _Z18simple_test_kernelI22mark_processed_functorIiEEvT_i.numbered_sgpr, 8
	.set _Z18simple_test_kernelI22mark_processed_functorIiEEvT_i.num_named_barrier, 0
	.set _Z18simple_test_kernelI22mark_processed_functorIiEEvT_i.private_seg_size, 0
	.set _Z18simple_test_kernelI22mark_processed_functorIiEEvT_i.uses_vcc, 0
	.set _Z18simple_test_kernelI22mark_processed_functorIiEEvT_i.uses_flat_scratch, 0
	.set _Z18simple_test_kernelI22mark_processed_functorIiEEvT_i.has_dyn_sized_stack, 0
	.set _Z18simple_test_kernelI22mark_processed_functorIiEEvT_i.has_recursion, 0
	.set _Z18simple_test_kernelI22mark_processed_functorIiEEvT_i.has_indirect_call, 0
	.section	.AMDGPU.csdata,"",@progbits
; Kernel info:
; codeLenInByte = 92
; TotalNumSgprs: 12
; NumVgprs: 2
; ScratchSize: 0
; MemoryBound: 0
; FloatMode: 240
; IeeeMode: 1
; LDSByteSize: 0 bytes/workgroup (compile time only)
; SGPRBlocks: 1
; VGPRBlocks: 0
; NumSGPRsForWavesPerEU: 12
; NumVGPRsForWavesPerEU: 2
; Occupancy: 10
; WaveLimiterHint : 0
; COMPUTE_PGM_RSRC2:SCRATCH_EN: 0
; COMPUTE_PGM_RSRC2:USER_SGPR: 6
; COMPUTE_PGM_RSRC2:TRAP_HANDLER: 0
; COMPUTE_PGM_RSRC2:TGID_X_EN: 1
; COMPUTE_PGM_RSRC2:TGID_Y_EN: 0
; COMPUTE_PGM_RSRC2:TGID_Z_EN: 0
; COMPUTE_PGM_RSRC2:TIDIG_COMP_CNT: 0
	.section	.text._ZN6thrust23THRUST_200600_302600_NS11hip_rocprim14__parallel_for6kernelILj256ENS1_10for_each_fINS0_17counting_iteratorIiNS0_11use_defaultES6_S6_EENS0_6detail16wrapped_functionI22mark_processed_functorIiEvEEEElLj1EEEvT0_T1_SF_,"axG",@progbits,_ZN6thrust23THRUST_200600_302600_NS11hip_rocprim14__parallel_for6kernelILj256ENS1_10for_each_fINS0_17counting_iteratorIiNS0_11use_defaultES6_S6_EENS0_6detail16wrapped_functionI22mark_processed_functorIiEvEEEElLj1EEEvT0_T1_SF_,comdat
	.protected	_ZN6thrust23THRUST_200600_302600_NS11hip_rocprim14__parallel_for6kernelILj256ENS1_10for_each_fINS0_17counting_iteratorIiNS0_11use_defaultES6_S6_EENS0_6detail16wrapped_functionI22mark_processed_functorIiEvEEEElLj1EEEvT0_T1_SF_ ; -- Begin function _ZN6thrust23THRUST_200600_302600_NS11hip_rocprim14__parallel_for6kernelILj256ENS1_10for_each_fINS0_17counting_iteratorIiNS0_11use_defaultES6_S6_EENS0_6detail16wrapped_functionI22mark_processed_functorIiEvEEEElLj1EEEvT0_T1_SF_
	.globl	_ZN6thrust23THRUST_200600_302600_NS11hip_rocprim14__parallel_for6kernelILj256ENS1_10for_each_fINS0_17counting_iteratorIiNS0_11use_defaultES6_S6_EENS0_6detail16wrapped_functionI22mark_processed_functorIiEvEEEElLj1EEEvT0_T1_SF_
	.p2align	8
	.type	_ZN6thrust23THRUST_200600_302600_NS11hip_rocprim14__parallel_for6kernelILj256ENS1_10for_each_fINS0_17counting_iteratorIiNS0_11use_defaultES6_S6_EENS0_6detail16wrapped_functionI22mark_processed_functorIiEvEEEElLj1EEEvT0_T1_SF_,@function
_ZN6thrust23THRUST_200600_302600_NS11hip_rocprim14__parallel_for6kernelILj256ENS1_10for_each_fINS0_17counting_iteratorIiNS0_11use_defaultES6_S6_EENS0_6detail16wrapped_functionI22mark_processed_functorIiEvEEEElLj1EEEvT0_T1_SF_: ; @_ZN6thrust23THRUST_200600_302600_NS11hip_rocprim14__parallel_for6kernelILj256ENS1_10for_each_fINS0_17counting_iteratorIiNS0_11use_defaultES6_S6_EENS0_6detail16wrapped_functionI22mark_processed_functorIiEvEEEElLj1EEEvT0_T1_SF_
; %bb.0:
	s_load_dwordx4 s[8:11], s[4:5], 0x10
	s_lshl_b32 s0, s6, 8
	v_mov_b32_e32 v1, 0x100
	v_mov_b32_e32 v2, 0
	s_waitcnt lgkmcnt(0)
	s_add_u32 s0, s10, s0
	s_addc_u32 s1, s11, 0
	s_sub_u32 s2, s8, s0
	s_subb_u32 s3, s9, s1
	v_cmp_lt_i64_e32 vcc, s[2:3], v[1:2]
	s_and_b64 s[6:7], vcc, exec
	s_cselect_b32 s1, s2, 0x100
	s_cmpk_eq_i32 s1, 0x100
	s_cselect_b64 s[2:3], -1, 0
	v_cmp_gt_u32_e32 vcc, s1, v0
	s_or_b64 s[2:3], s[2:3], vcc
	s_and_saveexec_b64 s[6:7], s[2:3]
	s_cbranch_execz .LBB6_2
; %bb.1:
	s_load_dword s1, s[4:5], 0x0
	s_load_dwordx2 s[2:3], s[4:5], 0x8
	s_waitcnt lgkmcnt(0)
	s_add_i32 s1, s1, s0
	v_add_u32_e32 v0, s1, v0
	v_ashrrev_i32_e32 v1, 31, v0
	v_lshlrev_b64 v[0:1], 2, v[0:1]
	v_mov_b32_e32 v2, s3
	v_add_co_u32_e32 v0, vcc, s2, v0
	v_addc_co_u32_e32 v1, vcc, v2, v1, vcc
	v_mov_b32_e32 v2, 1
	global_store_dword v[0:1], v2, off
.LBB6_2:
	s_endpgm
	.section	.rodata,"a",@progbits
	.p2align	6, 0x0
	.amdhsa_kernel _ZN6thrust23THRUST_200600_302600_NS11hip_rocprim14__parallel_for6kernelILj256ENS1_10for_each_fINS0_17counting_iteratorIiNS0_11use_defaultES6_S6_EENS0_6detail16wrapped_functionI22mark_processed_functorIiEvEEEElLj1EEEvT0_T1_SF_
		.amdhsa_group_segment_fixed_size 0
		.amdhsa_private_segment_fixed_size 0
		.amdhsa_kernarg_size 32
		.amdhsa_user_sgpr_count 6
		.amdhsa_user_sgpr_private_segment_buffer 1
		.amdhsa_user_sgpr_dispatch_ptr 0
		.amdhsa_user_sgpr_queue_ptr 0
		.amdhsa_user_sgpr_kernarg_segment_ptr 1
		.amdhsa_user_sgpr_dispatch_id 0
		.amdhsa_user_sgpr_flat_scratch_init 0
		.amdhsa_user_sgpr_private_segment_size 0
		.amdhsa_uses_dynamic_stack 0
		.amdhsa_system_sgpr_private_segment_wavefront_offset 0
		.amdhsa_system_sgpr_workgroup_id_x 1
		.amdhsa_system_sgpr_workgroup_id_y 0
		.amdhsa_system_sgpr_workgroup_id_z 0
		.amdhsa_system_sgpr_workgroup_info 0
		.amdhsa_system_vgpr_workitem_id 0
		.amdhsa_next_free_vgpr 3
		.amdhsa_next_free_sgpr 12
		.amdhsa_reserve_vcc 1
		.amdhsa_reserve_flat_scratch 0
		.amdhsa_float_round_mode_32 0
		.amdhsa_float_round_mode_16_64 0
		.amdhsa_float_denorm_mode_32 3
		.amdhsa_float_denorm_mode_16_64 3
		.amdhsa_dx10_clamp 1
		.amdhsa_ieee_mode 1
		.amdhsa_fp16_overflow 0
		.amdhsa_exception_fp_ieee_invalid_op 0
		.amdhsa_exception_fp_denorm_src 0
		.amdhsa_exception_fp_ieee_div_zero 0
		.amdhsa_exception_fp_ieee_overflow 0
		.amdhsa_exception_fp_ieee_underflow 0
		.amdhsa_exception_fp_ieee_inexact 0
		.amdhsa_exception_int_div_zero 0
	.end_amdhsa_kernel
	.section	.text._ZN6thrust23THRUST_200600_302600_NS11hip_rocprim14__parallel_for6kernelILj256ENS1_10for_each_fINS0_17counting_iteratorIiNS0_11use_defaultES6_S6_EENS0_6detail16wrapped_functionI22mark_processed_functorIiEvEEEElLj1EEEvT0_T1_SF_,"axG",@progbits,_ZN6thrust23THRUST_200600_302600_NS11hip_rocprim14__parallel_for6kernelILj256ENS1_10for_each_fINS0_17counting_iteratorIiNS0_11use_defaultES6_S6_EENS0_6detail16wrapped_functionI22mark_processed_functorIiEvEEEElLj1EEEvT0_T1_SF_,comdat
.Lfunc_end6:
	.size	_ZN6thrust23THRUST_200600_302600_NS11hip_rocprim14__parallel_for6kernelILj256ENS1_10for_each_fINS0_17counting_iteratorIiNS0_11use_defaultES6_S6_EENS0_6detail16wrapped_functionI22mark_processed_functorIiEvEEEElLj1EEEvT0_T1_SF_, .Lfunc_end6-_ZN6thrust23THRUST_200600_302600_NS11hip_rocprim14__parallel_for6kernelILj256ENS1_10for_each_fINS0_17counting_iteratorIiNS0_11use_defaultES6_S6_EENS0_6detail16wrapped_functionI22mark_processed_functorIiEvEEEElLj1EEEvT0_T1_SF_
                                        ; -- End function
	.set _ZN6thrust23THRUST_200600_302600_NS11hip_rocprim14__parallel_for6kernelILj256ENS1_10for_each_fINS0_17counting_iteratorIiNS0_11use_defaultES6_S6_EENS0_6detail16wrapped_functionI22mark_processed_functorIiEvEEEElLj1EEEvT0_T1_SF_.num_vgpr, 3
	.set _ZN6thrust23THRUST_200600_302600_NS11hip_rocprim14__parallel_for6kernelILj256ENS1_10for_each_fINS0_17counting_iteratorIiNS0_11use_defaultES6_S6_EENS0_6detail16wrapped_functionI22mark_processed_functorIiEvEEEElLj1EEEvT0_T1_SF_.num_agpr, 0
	.set _ZN6thrust23THRUST_200600_302600_NS11hip_rocprim14__parallel_for6kernelILj256ENS1_10for_each_fINS0_17counting_iteratorIiNS0_11use_defaultES6_S6_EENS0_6detail16wrapped_functionI22mark_processed_functorIiEvEEEElLj1EEEvT0_T1_SF_.numbered_sgpr, 12
	.set _ZN6thrust23THRUST_200600_302600_NS11hip_rocprim14__parallel_for6kernelILj256ENS1_10for_each_fINS0_17counting_iteratorIiNS0_11use_defaultES6_S6_EENS0_6detail16wrapped_functionI22mark_processed_functorIiEvEEEElLj1EEEvT0_T1_SF_.num_named_barrier, 0
	.set _ZN6thrust23THRUST_200600_302600_NS11hip_rocprim14__parallel_for6kernelILj256ENS1_10for_each_fINS0_17counting_iteratorIiNS0_11use_defaultES6_S6_EENS0_6detail16wrapped_functionI22mark_processed_functorIiEvEEEElLj1EEEvT0_T1_SF_.private_seg_size, 0
	.set _ZN6thrust23THRUST_200600_302600_NS11hip_rocprim14__parallel_for6kernelILj256ENS1_10for_each_fINS0_17counting_iteratorIiNS0_11use_defaultES6_S6_EENS0_6detail16wrapped_functionI22mark_processed_functorIiEvEEEElLj1EEEvT0_T1_SF_.uses_vcc, 1
	.set _ZN6thrust23THRUST_200600_302600_NS11hip_rocprim14__parallel_for6kernelILj256ENS1_10for_each_fINS0_17counting_iteratorIiNS0_11use_defaultES6_S6_EENS0_6detail16wrapped_functionI22mark_processed_functorIiEvEEEElLj1EEEvT0_T1_SF_.uses_flat_scratch, 0
	.set _ZN6thrust23THRUST_200600_302600_NS11hip_rocprim14__parallel_for6kernelILj256ENS1_10for_each_fINS0_17counting_iteratorIiNS0_11use_defaultES6_S6_EENS0_6detail16wrapped_functionI22mark_processed_functorIiEvEEEElLj1EEEvT0_T1_SF_.has_dyn_sized_stack, 0
	.set _ZN6thrust23THRUST_200600_302600_NS11hip_rocprim14__parallel_for6kernelILj256ENS1_10for_each_fINS0_17counting_iteratorIiNS0_11use_defaultES6_S6_EENS0_6detail16wrapped_functionI22mark_processed_functorIiEvEEEElLj1EEEvT0_T1_SF_.has_recursion, 0
	.set _ZN6thrust23THRUST_200600_302600_NS11hip_rocprim14__parallel_for6kernelILj256ENS1_10for_each_fINS0_17counting_iteratorIiNS0_11use_defaultES6_S6_EENS0_6detail16wrapped_functionI22mark_processed_functorIiEvEEEElLj1EEEvT0_T1_SF_.has_indirect_call, 0
	.section	.AMDGPU.csdata,"",@progbits
; Kernel info:
; codeLenInByte = 152
; TotalNumSgprs: 16
; NumVgprs: 3
; ScratchSize: 0
; MemoryBound: 0
; FloatMode: 240
; IeeeMode: 1
; LDSByteSize: 0 bytes/workgroup (compile time only)
; SGPRBlocks: 1
; VGPRBlocks: 0
; NumSGPRsForWavesPerEU: 16
; NumVGPRsForWavesPerEU: 3
; Occupancy: 10
; WaveLimiterHint : 0
; COMPUTE_PGM_RSRC2:SCRATCH_EN: 0
; COMPUTE_PGM_RSRC2:USER_SGPR: 6
; COMPUTE_PGM_RSRC2:TRAP_HANDLER: 0
; COMPUTE_PGM_RSRC2:TGID_X_EN: 1
; COMPUTE_PGM_RSRC2:TGID_Y_EN: 0
; COMPUTE_PGM_RSRC2:TGID_Z_EN: 0
; COMPUTE_PGM_RSRC2:TIDIG_COMP_CNT: 0
	.section	.text._Z18simple_test_kernelI22mark_processed_functorIsEEvT_i,"axG",@progbits,_Z18simple_test_kernelI22mark_processed_functorIsEEvT_i,comdat
	.protected	_Z18simple_test_kernelI22mark_processed_functorIsEEvT_i ; -- Begin function _Z18simple_test_kernelI22mark_processed_functorIsEEvT_i
	.globl	_Z18simple_test_kernelI22mark_processed_functorIsEEvT_i
	.p2align	8
	.type	_Z18simple_test_kernelI22mark_processed_functorIsEEvT_i,@function
_Z18simple_test_kernelI22mark_processed_functorIsEEvT_i: ; @_Z18simple_test_kernelI22mark_processed_functorIsEEvT_i
; %bb.0:
	s_load_dword s2, s[4:5], 0x8
	s_waitcnt lgkmcnt(0)
	s_cmp_eq_u32 s2, 0
	s_cbranch_scc1 .LBB7_10
; %bb.1:
	s_load_dwordx2 s[0:1], s[4:5], 0x0
	s_ashr_i32 s3, s2, 31
	s_cmp_lt_u32 s2, 6
	s_cselect_b64 s[6:7], -1, 0
	s_and_b64 vcc, exec, s[6:7]
	s_cbranch_vccnz .LBB7_6
; %bb.2:
	s_add_u32 s4, s2, -1
	s_addc_u32 s8, s3, -1
	s_cmp_gt_i32 s2, 0
	s_cselect_b64 s[10:11], -1, 0
	s_and_b32 s13, s8, -2
	s_and_b32 s12, s4, 0x80000000
	s_cmp_eq_u64 s[12:13], 0
	s_cselect_b64 s[12:13], -1, 0
	s_and_b64 s[10:11], s[12:13], s[10:11]
	s_mov_b64 s[6:7], -1
	s_mov_b32 s5, 0
	s_mov_b64 s[8:9], 0
	s_and_b64 vcc, exec, s[10:11]
	s_cbranch_vccz .LBB7_7
; %bb.3:
	s_and_b32 s4, s2, 0x7ffffffc
	v_mov_b32_e32 v0, 0x10001
	s_mov_b64 s[6:7], 0
	v_mov_b32_e32 v2, 0
	v_mov_b32_e32 v1, v0
	s_mov_b64 s[8:9], s[4:5]
.LBB7_4:                                ; =>This Inner Loop Header: Depth=1
	s_ashr_i64 s[10:11], s[6:7], 31
	s_waitcnt lgkmcnt(0)
	s_add_u32 s10, s0, s10
	s_addc_u32 s11, s1, s11
	s_add_u32 s8, s8, -4
	s_addc_u32 s9, s9, -1
	s_add_i32 s7, s7, 4
	s_cmp_lg_u64 s[8:9], 0
	global_store_dwordx2 v2, v[0:1], s[10:11]
	s_cbranch_scc1 .LBB7_4
; %bb.5:
	s_cmp_lg_u64 s[4:5], s[2:3]
	s_cselect_b64 s[6:7], -1, 0
	s_mov_b64 s[8:9], s[4:5]
	s_branch .LBB7_7
.LBB7_6:
	s_mov_b64 s[8:9], 0
.LBB7_7:
	s_and_b64 vcc, exec, s[6:7]
	s_cbranch_vccz .LBB7_10
; %bb.8:
	s_sub_u32 s2, s2, s8
	s_mov_b32 s4, 0
	s_mov_b32 s5, s8
	s_subb_u32 s3, s3, s9
	v_mov_b32_e32 v0, 0
	v_mov_b32_e32 v1, 1
.LBB7_9:                                ; =>This Inner Loop Header: Depth=1
	s_ashr_i64 s[6:7], s[4:5], 31
	s_waitcnt lgkmcnt(0)
	s_add_u32 s6, s0, s6
	s_addc_u32 s7, s1, s7
	s_add_i32 s5, s5, 1
	s_add_u32 s2, s2, -1
	s_addc_u32 s3, s3, -1
	s_cmp_lg_u64 s[2:3], 0
	global_store_short v0, v1, s[6:7]
	s_cbranch_scc1 .LBB7_9
.LBB7_10:
	s_endpgm
	.section	.rodata,"a",@progbits
	.p2align	6, 0x0
	.amdhsa_kernel _Z18simple_test_kernelI22mark_processed_functorIsEEvT_i
		.amdhsa_group_segment_fixed_size 0
		.amdhsa_private_segment_fixed_size 0
		.amdhsa_kernarg_size 12
		.amdhsa_user_sgpr_count 6
		.amdhsa_user_sgpr_private_segment_buffer 1
		.amdhsa_user_sgpr_dispatch_ptr 0
		.amdhsa_user_sgpr_queue_ptr 0
		.amdhsa_user_sgpr_kernarg_segment_ptr 1
		.amdhsa_user_sgpr_dispatch_id 0
		.amdhsa_user_sgpr_flat_scratch_init 0
		.amdhsa_user_sgpr_private_segment_size 0
		.amdhsa_uses_dynamic_stack 0
		.amdhsa_system_sgpr_private_segment_wavefront_offset 0
		.amdhsa_system_sgpr_workgroup_id_x 1
		.amdhsa_system_sgpr_workgroup_id_y 0
		.amdhsa_system_sgpr_workgroup_id_z 0
		.amdhsa_system_sgpr_workgroup_info 0
		.amdhsa_system_vgpr_workitem_id 0
		.amdhsa_next_free_vgpr 3
		.amdhsa_next_free_sgpr 14
		.amdhsa_reserve_vcc 1
		.amdhsa_reserve_flat_scratch 0
		.amdhsa_float_round_mode_32 0
		.amdhsa_float_round_mode_16_64 0
		.amdhsa_float_denorm_mode_32 3
		.amdhsa_float_denorm_mode_16_64 3
		.amdhsa_dx10_clamp 1
		.amdhsa_ieee_mode 1
		.amdhsa_fp16_overflow 0
		.amdhsa_exception_fp_ieee_invalid_op 0
		.amdhsa_exception_fp_denorm_src 0
		.amdhsa_exception_fp_ieee_div_zero 0
		.amdhsa_exception_fp_ieee_overflow 0
		.amdhsa_exception_fp_ieee_underflow 0
		.amdhsa_exception_fp_ieee_inexact 0
		.amdhsa_exception_int_div_zero 0
	.end_amdhsa_kernel
	.section	.text._Z18simple_test_kernelI22mark_processed_functorIsEEvT_i,"axG",@progbits,_Z18simple_test_kernelI22mark_processed_functorIsEEvT_i,comdat
.Lfunc_end7:
	.size	_Z18simple_test_kernelI22mark_processed_functorIsEEvT_i, .Lfunc_end7-_Z18simple_test_kernelI22mark_processed_functorIsEEvT_i
                                        ; -- End function
	.set _Z18simple_test_kernelI22mark_processed_functorIsEEvT_i.num_vgpr, 3
	.set _Z18simple_test_kernelI22mark_processed_functorIsEEvT_i.num_agpr, 0
	.set _Z18simple_test_kernelI22mark_processed_functorIsEEvT_i.numbered_sgpr, 14
	.set _Z18simple_test_kernelI22mark_processed_functorIsEEvT_i.num_named_barrier, 0
	.set _Z18simple_test_kernelI22mark_processed_functorIsEEvT_i.private_seg_size, 0
	.set _Z18simple_test_kernelI22mark_processed_functorIsEEvT_i.uses_vcc, 1
	.set _Z18simple_test_kernelI22mark_processed_functorIsEEvT_i.uses_flat_scratch, 0
	.set _Z18simple_test_kernelI22mark_processed_functorIsEEvT_i.has_dyn_sized_stack, 0
	.set _Z18simple_test_kernelI22mark_processed_functorIsEEvT_i.has_recursion, 0
	.set _Z18simple_test_kernelI22mark_processed_functorIsEEvT_i.has_indirect_call, 0
	.section	.AMDGPU.csdata,"",@progbits
; Kernel info:
; codeLenInByte = 284
; TotalNumSgprs: 18
; NumVgprs: 3
; ScratchSize: 0
; MemoryBound: 0
; FloatMode: 240
; IeeeMode: 1
; LDSByteSize: 0 bytes/workgroup (compile time only)
; SGPRBlocks: 2
; VGPRBlocks: 0
; NumSGPRsForWavesPerEU: 18
; NumVGPRsForWavesPerEU: 3
; Occupancy: 10
; WaveLimiterHint : 0
; COMPUTE_PGM_RSRC2:SCRATCH_EN: 0
; COMPUTE_PGM_RSRC2:USER_SGPR: 6
; COMPUTE_PGM_RSRC2:TRAP_HANDLER: 0
; COMPUTE_PGM_RSRC2:TGID_X_EN: 1
; COMPUTE_PGM_RSRC2:TGID_Y_EN: 0
; COMPUTE_PGM_RSRC2:TGID_Z_EN: 0
; COMPUTE_PGM_RSRC2:TIDIG_COMP_CNT: 0
	.section	.text._ZN6thrust23THRUST_200600_302600_NS11hip_rocprim14__parallel_for6kernelILj256ENS1_10for_each_fINS0_17counting_iteratorIiNS0_11use_defaultES6_S6_EENS0_6detail16wrapped_functionI22mark_processed_functorIsEvEEEElLj1EEEvT0_T1_SF_,"axG",@progbits,_ZN6thrust23THRUST_200600_302600_NS11hip_rocprim14__parallel_for6kernelILj256ENS1_10for_each_fINS0_17counting_iteratorIiNS0_11use_defaultES6_S6_EENS0_6detail16wrapped_functionI22mark_processed_functorIsEvEEEElLj1EEEvT0_T1_SF_,comdat
	.protected	_ZN6thrust23THRUST_200600_302600_NS11hip_rocprim14__parallel_for6kernelILj256ENS1_10for_each_fINS0_17counting_iteratorIiNS0_11use_defaultES6_S6_EENS0_6detail16wrapped_functionI22mark_processed_functorIsEvEEEElLj1EEEvT0_T1_SF_ ; -- Begin function _ZN6thrust23THRUST_200600_302600_NS11hip_rocprim14__parallel_for6kernelILj256ENS1_10for_each_fINS0_17counting_iteratorIiNS0_11use_defaultES6_S6_EENS0_6detail16wrapped_functionI22mark_processed_functorIsEvEEEElLj1EEEvT0_T1_SF_
	.globl	_ZN6thrust23THRUST_200600_302600_NS11hip_rocprim14__parallel_for6kernelILj256ENS1_10for_each_fINS0_17counting_iteratorIiNS0_11use_defaultES6_S6_EENS0_6detail16wrapped_functionI22mark_processed_functorIsEvEEEElLj1EEEvT0_T1_SF_
	.p2align	8
	.type	_ZN6thrust23THRUST_200600_302600_NS11hip_rocprim14__parallel_for6kernelILj256ENS1_10for_each_fINS0_17counting_iteratorIiNS0_11use_defaultES6_S6_EENS0_6detail16wrapped_functionI22mark_processed_functorIsEvEEEElLj1EEEvT0_T1_SF_,@function
_ZN6thrust23THRUST_200600_302600_NS11hip_rocprim14__parallel_for6kernelILj256ENS1_10for_each_fINS0_17counting_iteratorIiNS0_11use_defaultES6_S6_EENS0_6detail16wrapped_functionI22mark_processed_functorIsEvEEEElLj1EEEvT0_T1_SF_: ; @_ZN6thrust23THRUST_200600_302600_NS11hip_rocprim14__parallel_for6kernelILj256ENS1_10for_each_fINS0_17counting_iteratorIiNS0_11use_defaultES6_S6_EENS0_6detail16wrapped_functionI22mark_processed_functorIsEvEEEElLj1EEEvT0_T1_SF_
; %bb.0:
	s_load_dwordx4 s[8:11], s[4:5], 0x10
	s_lshl_b32 s0, s6, 8
	v_mov_b32_e32 v1, 0x100
	v_mov_b32_e32 v2, 0
	s_waitcnt lgkmcnt(0)
	s_add_u32 s0, s10, s0
	s_addc_u32 s1, s11, 0
	s_sub_u32 s2, s8, s0
	s_subb_u32 s3, s9, s1
	v_cmp_lt_i64_e32 vcc, s[2:3], v[1:2]
	s_and_b64 s[6:7], vcc, exec
	s_cselect_b32 s1, s2, 0x100
	s_cmpk_eq_i32 s1, 0x100
	s_cselect_b64 s[2:3], -1, 0
	v_cmp_gt_u32_e32 vcc, s1, v0
	s_or_b64 s[2:3], s[2:3], vcc
	s_and_saveexec_b64 s[6:7], s[2:3]
	s_cbranch_execz .LBB8_2
; %bb.1:
	s_load_dword s1, s[4:5], 0x0
	s_load_dwordx2 s[2:3], s[4:5], 0x8
	s_waitcnt lgkmcnt(0)
	s_add_i32 s1, s1, s0
	v_add_u32_e32 v0, s1, v0
	v_ashrrev_i32_e32 v1, 31, v0
	v_lshlrev_b64 v[0:1], 1, v[0:1]
	v_mov_b32_e32 v2, s3
	v_add_co_u32_e32 v0, vcc, s2, v0
	v_addc_co_u32_e32 v1, vcc, v2, v1, vcc
	v_mov_b32_e32 v2, 1
	global_store_short v[0:1], v2, off
.LBB8_2:
	s_endpgm
	.section	.rodata,"a",@progbits
	.p2align	6, 0x0
	.amdhsa_kernel _ZN6thrust23THRUST_200600_302600_NS11hip_rocprim14__parallel_for6kernelILj256ENS1_10for_each_fINS0_17counting_iteratorIiNS0_11use_defaultES6_S6_EENS0_6detail16wrapped_functionI22mark_processed_functorIsEvEEEElLj1EEEvT0_T1_SF_
		.amdhsa_group_segment_fixed_size 0
		.amdhsa_private_segment_fixed_size 0
		.amdhsa_kernarg_size 32
		.amdhsa_user_sgpr_count 6
		.amdhsa_user_sgpr_private_segment_buffer 1
		.amdhsa_user_sgpr_dispatch_ptr 0
		.amdhsa_user_sgpr_queue_ptr 0
		.amdhsa_user_sgpr_kernarg_segment_ptr 1
		.amdhsa_user_sgpr_dispatch_id 0
		.amdhsa_user_sgpr_flat_scratch_init 0
		.amdhsa_user_sgpr_private_segment_size 0
		.amdhsa_uses_dynamic_stack 0
		.amdhsa_system_sgpr_private_segment_wavefront_offset 0
		.amdhsa_system_sgpr_workgroup_id_x 1
		.amdhsa_system_sgpr_workgroup_id_y 0
		.amdhsa_system_sgpr_workgroup_id_z 0
		.amdhsa_system_sgpr_workgroup_info 0
		.amdhsa_system_vgpr_workitem_id 0
		.amdhsa_next_free_vgpr 3
		.amdhsa_next_free_sgpr 12
		.amdhsa_reserve_vcc 1
		.amdhsa_reserve_flat_scratch 0
		.amdhsa_float_round_mode_32 0
		.amdhsa_float_round_mode_16_64 0
		.amdhsa_float_denorm_mode_32 3
		.amdhsa_float_denorm_mode_16_64 3
		.amdhsa_dx10_clamp 1
		.amdhsa_ieee_mode 1
		.amdhsa_fp16_overflow 0
		.amdhsa_exception_fp_ieee_invalid_op 0
		.amdhsa_exception_fp_denorm_src 0
		.amdhsa_exception_fp_ieee_div_zero 0
		.amdhsa_exception_fp_ieee_overflow 0
		.amdhsa_exception_fp_ieee_underflow 0
		.amdhsa_exception_fp_ieee_inexact 0
		.amdhsa_exception_int_div_zero 0
	.end_amdhsa_kernel
	.section	.text._ZN6thrust23THRUST_200600_302600_NS11hip_rocprim14__parallel_for6kernelILj256ENS1_10for_each_fINS0_17counting_iteratorIiNS0_11use_defaultES6_S6_EENS0_6detail16wrapped_functionI22mark_processed_functorIsEvEEEElLj1EEEvT0_T1_SF_,"axG",@progbits,_ZN6thrust23THRUST_200600_302600_NS11hip_rocprim14__parallel_for6kernelILj256ENS1_10for_each_fINS0_17counting_iteratorIiNS0_11use_defaultES6_S6_EENS0_6detail16wrapped_functionI22mark_processed_functorIsEvEEEElLj1EEEvT0_T1_SF_,comdat
.Lfunc_end8:
	.size	_ZN6thrust23THRUST_200600_302600_NS11hip_rocprim14__parallel_for6kernelILj256ENS1_10for_each_fINS0_17counting_iteratorIiNS0_11use_defaultES6_S6_EENS0_6detail16wrapped_functionI22mark_processed_functorIsEvEEEElLj1EEEvT0_T1_SF_, .Lfunc_end8-_ZN6thrust23THRUST_200600_302600_NS11hip_rocprim14__parallel_for6kernelILj256ENS1_10for_each_fINS0_17counting_iteratorIiNS0_11use_defaultES6_S6_EENS0_6detail16wrapped_functionI22mark_processed_functorIsEvEEEElLj1EEEvT0_T1_SF_
                                        ; -- End function
	.set _ZN6thrust23THRUST_200600_302600_NS11hip_rocprim14__parallel_for6kernelILj256ENS1_10for_each_fINS0_17counting_iteratorIiNS0_11use_defaultES6_S6_EENS0_6detail16wrapped_functionI22mark_processed_functorIsEvEEEElLj1EEEvT0_T1_SF_.num_vgpr, 3
	.set _ZN6thrust23THRUST_200600_302600_NS11hip_rocprim14__parallel_for6kernelILj256ENS1_10for_each_fINS0_17counting_iteratorIiNS0_11use_defaultES6_S6_EENS0_6detail16wrapped_functionI22mark_processed_functorIsEvEEEElLj1EEEvT0_T1_SF_.num_agpr, 0
	.set _ZN6thrust23THRUST_200600_302600_NS11hip_rocprim14__parallel_for6kernelILj256ENS1_10for_each_fINS0_17counting_iteratorIiNS0_11use_defaultES6_S6_EENS0_6detail16wrapped_functionI22mark_processed_functorIsEvEEEElLj1EEEvT0_T1_SF_.numbered_sgpr, 12
	.set _ZN6thrust23THRUST_200600_302600_NS11hip_rocprim14__parallel_for6kernelILj256ENS1_10for_each_fINS0_17counting_iteratorIiNS0_11use_defaultES6_S6_EENS0_6detail16wrapped_functionI22mark_processed_functorIsEvEEEElLj1EEEvT0_T1_SF_.num_named_barrier, 0
	.set _ZN6thrust23THRUST_200600_302600_NS11hip_rocprim14__parallel_for6kernelILj256ENS1_10for_each_fINS0_17counting_iteratorIiNS0_11use_defaultES6_S6_EENS0_6detail16wrapped_functionI22mark_processed_functorIsEvEEEElLj1EEEvT0_T1_SF_.private_seg_size, 0
	.set _ZN6thrust23THRUST_200600_302600_NS11hip_rocprim14__parallel_for6kernelILj256ENS1_10for_each_fINS0_17counting_iteratorIiNS0_11use_defaultES6_S6_EENS0_6detail16wrapped_functionI22mark_processed_functorIsEvEEEElLj1EEEvT0_T1_SF_.uses_vcc, 1
	.set _ZN6thrust23THRUST_200600_302600_NS11hip_rocprim14__parallel_for6kernelILj256ENS1_10for_each_fINS0_17counting_iteratorIiNS0_11use_defaultES6_S6_EENS0_6detail16wrapped_functionI22mark_processed_functorIsEvEEEElLj1EEEvT0_T1_SF_.uses_flat_scratch, 0
	.set _ZN6thrust23THRUST_200600_302600_NS11hip_rocprim14__parallel_for6kernelILj256ENS1_10for_each_fINS0_17counting_iteratorIiNS0_11use_defaultES6_S6_EENS0_6detail16wrapped_functionI22mark_processed_functorIsEvEEEElLj1EEEvT0_T1_SF_.has_dyn_sized_stack, 0
	.set _ZN6thrust23THRUST_200600_302600_NS11hip_rocprim14__parallel_for6kernelILj256ENS1_10for_each_fINS0_17counting_iteratorIiNS0_11use_defaultES6_S6_EENS0_6detail16wrapped_functionI22mark_processed_functorIsEvEEEElLj1EEEvT0_T1_SF_.has_recursion, 0
	.set _ZN6thrust23THRUST_200600_302600_NS11hip_rocprim14__parallel_for6kernelILj256ENS1_10for_each_fINS0_17counting_iteratorIiNS0_11use_defaultES6_S6_EENS0_6detail16wrapped_functionI22mark_processed_functorIsEvEEEElLj1EEEvT0_T1_SF_.has_indirect_call, 0
	.section	.AMDGPU.csdata,"",@progbits
; Kernel info:
; codeLenInByte = 152
; TotalNumSgprs: 16
; NumVgprs: 3
; ScratchSize: 0
; MemoryBound: 0
; FloatMode: 240
; IeeeMode: 1
; LDSByteSize: 0 bytes/workgroup (compile time only)
; SGPRBlocks: 1
; VGPRBlocks: 0
; NumSGPRsForWavesPerEU: 16
; NumVGPRsForWavesPerEU: 3
; Occupancy: 10
; WaveLimiterHint : 0
; COMPUTE_PGM_RSRC2:SCRATCH_EN: 0
; COMPUTE_PGM_RSRC2:USER_SGPR: 6
; COMPUTE_PGM_RSRC2:TRAP_HANDLER: 0
; COMPUTE_PGM_RSRC2:TGID_X_EN: 1
; COMPUTE_PGM_RSRC2:TGID_Y_EN: 0
; COMPUTE_PGM_RSRC2:TGID_Z_EN: 0
; COMPUTE_PGM_RSRC2:TIDIG_COMP_CNT: 0
	.section	.text._ZN6thrust23THRUST_200600_302600_NS11hip_rocprim14__parallel_for6kernelILj256ENS1_20__uninitialized_fill7functorINS0_10device_ptrIdEEdEEmLj1EEEvT0_T1_SA_,"axG",@progbits,_ZN6thrust23THRUST_200600_302600_NS11hip_rocprim14__parallel_for6kernelILj256ENS1_20__uninitialized_fill7functorINS0_10device_ptrIdEEdEEmLj1EEEvT0_T1_SA_,comdat
	.protected	_ZN6thrust23THRUST_200600_302600_NS11hip_rocprim14__parallel_for6kernelILj256ENS1_20__uninitialized_fill7functorINS0_10device_ptrIdEEdEEmLj1EEEvT0_T1_SA_ ; -- Begin function _ZN6thrust23THRUST_200600_302600_NS11hip_rocprim14__parallel_for6kernelILj256ENS1_20__uninitialized_fill7functorINS0_10device_ptrIdEEdEEmLj1EEEvT0_T1_SA_
	.globl	_ZN6thrust23THRUST_200600_302600_NS11hip_rocprim14__parallel_for6kernelILj256ENS1_20__uninitialized_fill7functorINS0_10device_ptrIdEEdEEmLj1EEEvT0_T1_SA_
	.p2align	8
	.type	_ZN6thrust23THRUST_200600_302600_NS11hip_rocprim14__parallel_for6kernelILj256ENS1_20__uninitialized_fill7functorINS0_10device_ptrIdEEdEEmLj1EEEvT0_T1_SA_,@function
_ZN6thrust23THRUST_200600_302600_NS11hip_rocprim14__parallel_for6kernelILj256ENS1_20__uninitialized_fill7functorINS0_10device_ptrIdEEdEEmLj1EEEvT0_T1_SA_: ; @_ZN6thrust23THRUST_200600_302600_NS11hip_rocprim14__parallel_for6kernelILj256ENS1_20__uninitialized_fill7functorINS0_10device_ptrIdEEdEEmLj1EEEvT0_T1_SA_
; %bb.0:
	s_load_dwordx8 s[8:15], s[4:5], 0x0
	s_lshl_b32 s0, s6, 8
	v_mov_b32_e32 v1, 0xff
	v_mov_b32_e32 v2, 0
	s_mov_b64 s[4:5], -1
	s_waitcnt lgkmcnt(0)
	s_add_u32 s0, s14, s0
	s_addc_u32 s1, s15, 0
	s_sub_u32 s2, s12, s0
	s_subb_u32 s3, s13, s1
	v_cmp_gt_u64_e32 vcc, s[2:3], v[1:2]
	s_cbranch_vccz .LBB9_3
; %bb.1:
	s_andn2_b64 vcc, exec, s[4:5]
	s_cbranch_vccz .LBB9_6
.LBB9_2:
	s_endpgm
.LBB9_3:
	v_cmp_gt_u32_e32 vcc, s2, v0
	s_and_saveexec_b64 s[2:3], vcc
	s_cbranch_execz .LBB9_5
; %bb.4:
	s_lshl_b64 s[4:5], s[0:1], 3
	s_add_u32 s4, s8, s4
	s_addc_u32 s5, s9, s5
	v_lshlrev_b32_e32 v1, 3, v0
	v_mov_b32_e32 v2, s5
	v_add_co_u32_e32 v1, vcc, s4, v1
	v_mov_b32_e32 v3, s10
	v_addc_co_u32_e32 v2, vcc, 0, v2, vcc
	v_mov_b32_e32 v4, s11
	flat_store_dwordx2 v[1:2], v[3:4]
.LBB9_5:
	s_or_b64 exec, exec, s[2:3]
	s_cbranch_execnz .LBB9_2
.LBB9_6:
	s_lshl_b64 s[0:1], s[0:1], 3
	s_add_u32 s0, s8, s0
	s_addc_u32 s1, s9, s1
	v_lshlrev_b32_e32 v0, 3, v0
	v_mov_b32_e32 v1, s1
	v_add_co_u32_e32 v0, vcc, s0, v0
	v_mov_b32_e32 v2, s10
	v_addc_co_u32_e32 v1, vcc, 0, v1, vcc
	v_mov_b32_e32 v3, s11
	flat_store_dwordx2 v[0:1], v[2:3]
	s_endpgm
	.section	.rodata,"a",@progbits
	.p2align	6, 0x0
	.amdhsa_kernel _ZN6thrust23THRUST_200600_302600_NS11hip_rocprim14__parallel_for6kernelILj256ENS1_20__uninitialized_fill7functorINS0_10device_ptrIdEEdEEmLj1EEEvT0_T1_SA_
		.amdhsa_group_segment_fixed_size 0
		.amdhsa_private_segment_fixed_size 0
		.amdhsa_kernarg_size 32
		.amdhsa_user_sgpr_count 6
		.amdhsa_user_sgpr_private_segment_buffer 1
		.amdhsa_user_sgpr_dispatch_ptr 0
		.amdhsa_user_sgpr_queue_ptr 0
		.amdhsa_user_sgpr_kernarg_segment_ptr 1
		.amdhsa_user_sgpr_dispatch_id 0
		.amdhsa_user_sgpr_flat_scratch_init 0
		.amdhsa_user_sgpr_private_segment_size 0
		.amdhsa_uses_dynamic_stack 0
		.amdhsa_system_sgpr_private_segment_wavefront_offset 0
		.amdhsa_system_sgpr_workgroup_id_x 1
		.amdhsa_system_sgpr_workgroup_id_y 0
		.amdhsa_system_sgpr_workgroup_id_z 0
		.amdhsa_system_sgpr_workgroup_info 0
		.amdhsa_system_vgpr_workitem_id 0
		.amdhsa_next_free_vgpr 5
		.amdhsa_next_free_sgpr 16
		.amdhsa_reserve_vcc 1
		.amdhsa_reserve_flat_scratch 0
		.amdhsa_float_round_mode_32 0
		.amdhsa_float_round_mode_16_64 0
		.amdhsa_float_denorm_mode_32 3
		.amdhsa_float_denorm_mode_16_64 3
		.amdhsa_dx10_clamp 1
		.amdhsa_ieee_mode 1
		.amdhsa_fp16_overflow 0
		.amdhsa_exception_fp_ieee_invalid_op 0
		.amdhsa_exception_fp_denorm_src 0
		.amdhsa_exception_fp_ieee_div_zero 0
		.amdhsa_exception_fp_ieee_overflow 0
		.amdhsa_exception_fp_ieee_underflow 0
		.amdhsa_exception_fp_ieee_inexact 0
		.amdhsa_exception_int_div_zero 0
	.end_amdhsa_kernel
	.section	.text._ZN6thrust23THRUST_200600_302600_NS11hip_rocprim14__parallel_for6kernelILj256ENS1_20__uninitialized_fill7functorINS0_10device_ptrIdEEdEEmLj1EEEvT0_T1_SA_,"axG",@progbits,_ZN6thrust23THRUST_200600_302600_NS11hip_rocprim14__parallel_for6kernelILj256ENS1_20__uninitialized_fill7functorINS0_10device_ptrIdEEdEEmLj1EEEvT0_T1_SA_,comdat
.Lfunc_end9:
	.size	_ZN6thrust23THRUST_200600_302600_NS11hip_rocprim14__parallel_for6kernelILj256ENS1_20__uninitialized_fill7functorINS0_10device_ptrIdEEdEEmLj1EEEvT0_T1_SA_, .Lfunc_end9-_ZN6thrust23THRUST_200600_302600_NS11hip_rocprim14__parallel_for6kernelILj256ENS1_20__uninitialized_fill7functorINS0_10device_ptrIdEEdEEmLj1EEEvT0_T1_SA_
                                        ; -- End function
	.set _ZN6thrust23THRUST_200600_302600_NS11hip_rocprim14__parallel_for6kernelILj256ENS1_20__uninitialized_fill7functorINS0_10device_ptrIdEEdEEmLj1EEEvT0_T1_SA_.num_vgpr, 5
	.set _ZN6thrust23THRUST_200600_302600_NS11hip_rocprim14__parallel_for6kernelILj256ENS1_20__uninitialized_fill7functorINS0_10device_ptrIdEEdEEmLj1EEEvT0_T1_SA_.num_agpr, 0
	.set _ZN6thrust23THRUST_200600_302600_NS11hip_rocprim14__parallel_for6kernelILj256ENS1_20__uninitialized_fill7functorINS0_10device_ptrIdEEdEEmLj1EEEvT0_T1_SA_.numbered_sgpr, 16
	.set _ZN6thrust23THRUST_200600_302600_NS11hip_rocprim14__parallel_for6kernelILj256ENS1_20__uninitialized_fill7functorINS0_10device_ptrIdEEdEEmLj1EEEvT0_T1_SA_.num_named_barrier, 0
	.set _ZN6thrust23THRUST_200600_302600_NS11hip_rocprim14__parallel_for6kernelILj256ENS1_20__uninitialized_fill7functorINS0_10device_ptrIdEEdEEmLj1EEEvT0_T1_SA_.private_seg_size, 0
	.set _ZN6thrust23THRUST_200600_302600_NS11hip_rocprim14__parallel_for6kernelILj256ENS1_20__uninitialized_fill7functorINS0_10device_ptrIdEEdEEmLj1EEEvT0_T1_SA_.uses_vcc, 1
	.set _ZN6thrust23THRUST_200600_302600_NS11hip_rocprim14__parallel_for6kernelILj256ENS1_20__uninitialized_fill7functorINS0_10device_ptrIdEEdEEmLj1EEEvT0_T1_SA_.uses_flat_scratch, 0
	.set _ZN6thrust23THRUST_200600_302600_NS11hip_rocprim14__parallel_for6kernelILj256ENS1_20__uninitialized_fill7functorINS0_10device_ptrIdEEdEEmLj1EEEvT0_T1_SA_.has_dyn_sized_stack, 0
	.set _ZN6thrust23THRUST_200600_302600_NS11hip_rocprim14__parallel_for6kernelILj256ENS1_20__uninitialized_fill7functorINS0_10device_ptrIdEEdEEmLj1EEEvT0_T1_SA_.has_recursion, 0
	.set _ZN6thrust23THRUST_200600_302600_NS11hip_rocprim14__parallel_for6kernelILj256ENS1_20__uninitialized_fill7functorINS0_10device_ptrIdEEdEEmLj1EEEvT0_T1_SA_.has_indirect_call, 0
	.section	.AMDGPU.csdata,"",@progbits
; Kernel info:
; codeLenInByte = 180
; TotalNumSgprs: 20
; NumVgprs: 5
; ScratchSize: 0
; MemoryBound: 0
; FloatMode: 240
; IeeeMode: 1
; LDSByteSize: 0 bytes/workgroup (compile time only)
; SGPRBlocks: 2
; VGPRBlocks: 1
; NumSGPRsForWavesPerEU: 20
; NumVGPRsForWavesPerEU: 5
; Occupancy: 10
; WaveLimiterHint : 0
; COMPUTE_PGM_RSRC2:SCRATCH_EN: 0
; COMPUTE_PGM_RSRC2:USER_SGPR: 6
; COMPUTE_PGM_RSRC2:TRAP_HANDLER: 0
; COMPUTE_PGM_RSRC2:TGID_X_EN: 1
; COMPUTE_PGM_RSRC2:TGID_Y_EN: 0
; COMPUTE_PGM_RSRC2:TGID_Z_EN: 0
; COMPUTE_PGM_RSRC2:TIDIG_COMP_CNT: 0
	.section	.text._ZN6thrust23THRUST_200600_302600_NS11hip_rocprim14__parallel_for6kernelILj256ENS1_10for_each_fINS0_6detail15normal_iteratorINS0_10device_ptrIdEEEENS5_16wrapped_functionI21mark_present_for_eachIdEvEEEElLj1EEEvT0_T1_SG_,"axG",@progbits,_ZN6thrust23THRUST_200600_302600_NS11hip_rocprim14__parallel_for6kernelILj256ENS1_10for_each_fINS0_6detail15normal_iteratorINS0_10device_ptrIdEEEENS5_16wrapped_functionI21mark_present_for_eachIdEvEEEElLj1EEEvT0_T1_SG_,comdat
	.protected	_ZN6thrust23THRUST_200600_302600_NS11hip_rocprim14__parallel_for6kernelILj256ENS1_10for_each_fINS0_6detail15normal_iteratorINS0_10device_ptrIdEEEENS5_16wrapped_functionI21mark_present_for_eachIdEvEEEElLj1EEEvT0_T1_SG_ ; -- Begin function _ZN6thrust23THRUST_200600_302600_NS11hip_rocprim14__parallel_for6kernelILj256ENS1_10for_each_fINS0_6detail15normal_iteratorINS0_10device_ptrIdEEEENS5_16wrapped_functionI21mark_present_for_eachIdEvEEEElLj1EEEvT0_T1_SG_
	.globl	_ZN6thrust23THRUST_200600_302600_NS11hip_rocprim14__parallel_for6kernelILj256ENS1_10for_each_fINS0_6detail15normal_iteratorINS0_10device_ptrIdEEEENS5_16wrapped_functionI21mark_present_for_eachIdEvEEEElLj1EEEvT0_T1_SG_
	.p2align	8
	.type	_ZN6thrust23THRUST_200600_302600_NS11hip_rocprim14__parallel_for6kernelILj256ENS1_10for_each_fINS0_6detail15normal_iteratorINS0_10device_ptrIdEEEENS5_16wrapped_functionI21mark_present_for_eachIdEvEEEElLj1EEEvT0_T1_SG_,@function
_ZN6thrust23THRUST_200600_302600_NS11hip_rocprim14__parallel_for6kernelILj256ENS1_10for_each_fINS0_6detail15normal_iteratorINS0_10device_ptrIdEEEENS5_16wrapped_functionI21mark_present_for_eachIdEvEEEElLj1EEEvT0_T1_SG_: ; @_ZN6thrust23THRUST_200600_302600_NS11hip_rocprim14__parallel_for6kernelILj256ENS1_10for_each_fINS0_6detail15normal_iteratorINS0_10device_ptrIdEEEENS5_16wrapped_functionI21mark_present_for_eachIdEvEEEElLj1EEEvT0_T1_SG_
; %bb.0:
	s_load_dwordx8 s[8:15], s[4:5], 0x0
	s_lshl_b32 s0, s6, 8
	v_mov_b32_e32 v1, 0x100
	v_mov_b32_e32 v2, 0
	s_waitcnt lgkmcnt(0)
	s_add_u32 s2, s14, s0
	s_addc_u32 s3, s15, 0
	s_sub_u32 s0, s12, s2
	s_subb_u32 s1, s13, s3
	v_cmp_lt_i64_e32 vcc, s[0:1], v[1:2]
	s_and_b64 s[4:5], vcc, exec
	s_cselect_b32 s0, s0, 0x100
	s_cmpk_eq_i32 s0, 0x100
	s_cbranch_scc1 .LBB10_4
; %bb.1:
	v_cmp_gt_u32_e32 vcc, s0, v0
	s_mov_b64 s[4:5], 0
	s_mov_b64 s[0:1], 0
                                        ; implicit-def: $vgpr1_vgpr2
	s_and_saveexec_b64 s[6:7], vcc
; %bb.2:
	s_lshl_b64 s[12:13], s[2:3], 3
	s_add_u32 s12, s8, s12
	s_addc_u32 s13, s9, s13
	v_lshlrev_b32_e32 v1, 3, v0
	v_mov_b32_e32 v2, s13
	v_add_co_u32_e32 v1, vcc, s12, v1
	s_mov_b64 s[0:1], exec
	v_addc_co_u32_e32 v2, vcc, 0, v2, vcc
; %bb.3:
	s_or_b64 exec, exec, s[6:7]
	s_and_b64 vcc, exec, s[4:5]
	s_cbranch_vccnz .LBB10_5
	s_branch .LBB10_6
.LBB10_4:
	s_mov_b64 s[0:1], 0
                                        ; implicit-def: $vgpr1_vgpr2
	s_cbranch_execz .LBB10_6
.LBB10_5:
	s_lshl_b64 s[2:3], s[2:3], 3
	s_add_u32 s2, s8, s2
	s_addc_u32 s3, s9, s3
	v_lshlrev_b32_e32 v0, 3, v0
	v_mov_b32_e32 v2, s3
	v_add_co_u32_e32 v1, vcc, s2, v0
	v_addc_co_u32_e32 v2, vcc, 0, v2, vcc
	s_or_b64 s[0:1], s[0:1], exec
.LBB10_6:
	s_and_saveexec_b64 s[2:3], s[0:1]
	s_cbranch_execnz .LBB10_8
; %bb.7:
	s_endpgm
.LBB10_8:
	flat_load_dwordx2 v[0:1], v[1:2]
	v_mov_b32_e32 v3, s11
	v_mov_b32_e32 v2, 0
	s_waitcnt vmcnt(0) lgkmcnt(0)
	v_cvt_i32_f64_e32 v0, v[0:1]
	v_ashrrev_i32_e32 v1, 31, v0
	v_lshlrev_b64 v[0:1], 3, v[0:1]
	v_add_co_u32_e32 v0, vcc, s10, v0
	v_addc_co_u32_e32 v1, vcc, v3, v1, vcc
	v_mov_b32_e32 v3, 0x3ff00000
	global_store_dwordx2 v[0:1], v[2:3], off
	s_endpgm
	.section	.rodata,"a",@progbits
	.p2align	6, 0x0
	.amdhsa_kernel _ZN6thrust23THRUST_200600_302600_NS11hip_rocprim14__parallel_for6kernelILj256ENS1_10for_each_fINS0_6detail15normal_iteratorINS0_10device_ptrIdEEEENS5_16wrapped_functionI21mark_present_for_eachIdEvEEEElLj1EEEvT0_T1_SG_
		.amdhsa_group_segment_fixed_size 0
		.amdhsa_private_segment_fixed_size 0
		.amdhsa_kernarg_size 32
		.amdhsa_user_sgpr_count 6
		.amdhsa_user_sgpr_private_segment_buffer 1
		.amdhsa_user_sgpr_dispatch_ptr 0
		.amdhsa_user_sgpr_queue_ptr 0
		.amdhsa_user_sgpr_kernarg_segment_ptr 1
		.amdhsa_user_sgpr_dispatch_id 0
		.amdhsa_user_sgpr_flat_scratch_init 0
		.amdhsa_user_sgpr_private_segment_size 0
		.amdhsa_uses_dynamic_stack 0
		.amdhsa_system_sgpr_private_segment_wavefront_offset 0
		.amdhsa_system_sgpr_workgroup_id_x 1
		.amdhsa_system_sgpr_workgroup_id_y 0
		.amdhsa_system_sgpr_workgroup_id_z 0
		.amdhsa_system_sgpr_workgroup_info 0
		.amdhsa_system_vgpr_workitem_id 0
		.amdhsa_next_free_vgpr 4
		.amdhsa_next_free_sgpr 16
		.amdhsa_reserve_vcc 1
		.amdhsa_reserve_flat_scratch 0
		.amdhsa_float_round_mode_32 0
		.amdhsa_float_round_mode_16_64 0
		.amdhsa_float_denorm_mode_32 3
		.amdhsa_float_denorm_mode_16_64 3
		.amdhsa_dx10_clamp 1
		.amdhsa_ieee_mode 1
		.amdhsa_fp16_overflow 0
		.amdhsa_exception_fp_ieee_invalid_op 0
		.amdhsa_exception_fp_denorm_src 0
		.amdhsa_exception_fp_ieee_div_zero 0
		.amdhsa_exception_fp_ieee_overflow 0
		.amdhsa_exception_fp_ieee_underflow 0
		.amdhsa_exception_fp_ieee_inexact 0
		.amdhsa_exception_int_div_zero 0
	.end_amdhsa_kernel
	.section	.text._ZN6thrust23THRUST_200600_302600_NS11hip_rocprim14__parallel_for6kernelILj256ENS1_10for_each_fINS0_6detail15normal_iteratorINS0_10device_ptrIdEEEENS5_16wrapped_functionI21mark_present_for_eachIdEvEEEElLj1EEEvT0_T1_SG_,"axG",@progbits,_ZN6thrust23THRUST_200600_302600_NS11hip_rocprim14__parallel_for6kernelILj256ENS1_10for_each_fINS0_6detail15normal_iteratorINS0_10device_ptrIdEEEENS5_16wrapped_functionI21mark_present_for_eachIdEvEEEElLj1EEEvT0_T1_SG_,comdat
.Lfunc_end10:
	.size	_ZN6thrust23THRUST_200600_302600_NS11hip_rocprim14__parallel_for6kernelILj256ENS1_10for_each_fINS0_6detail15normal_iteratorINS0_10device_ptrIdEEEENS5_16wrapped_functionI21mark_present_for_eachIdEvEEEElLj1EEEvT0_T1_SG_, .Lfunc_end10-_ZN6thrust23THRUST_200600_302600_NS11hip_rocprim14__parallel_for6kernelILj256ENS1_10for_each_fINS0_6detail15normal_iteratorINS0_10device_ptrIdEEEENS5_16wrapped_functionI21mark_present_for_eachIdEvEEEElLj1EEEvT0_T1_SG_
                                        ; -- End function
	.set _ZN6thrust23THRUST_200600_302600_NS11hip_rocprim14__parallel_for6kernelILj256ENS1_10for_each_fINS0_6detail15normal_iteratorINS0_10device_ptrIdEEEENS5_16wrapped_functionI21mark_present_for_eachIdEvEEEElLj1EEEvT0_T1_SG_.num_vgpr, 4
	.set _ZN6thrust23THRUST_200600_302600_NS11hip_rocprim14__parallel_for6kernelILj256ENS1_10for_each_fINS0_6detail15normal_iteratorINS0_10device_ptrIdEEEENS5_16wrapped_functionI21mark_present_for_eachIdEvEEEElLj1EEEvT0_T1_SG_.num_agpr, 0
	.set _ZN6thrust23THRUST_200600_302600_NS11hip_rocprim14__parallel_for6kernelILj256ENS1_10for_each_fINS0_6detail15normal_iteratorINS0_10device_ptrIdEEEENS5_16wrapped_functionI21mark_present_for_eachIdEvEEEElLj1EEEvT0_T1_SG_.numbered_sgpr, 16
	.set _ZN6thrust23THRUST_200600_302600_NS11hip_rocprim14__parallel_for6kernelILj256ENS1_10for_each_fINS0_6detail15normal_iteratorINS0_10device_ptrIdEEEENS5_16wrapped_functionI21mark_present_for_eachIdEvEEEElLj1EEEvT0_T1_SG_.num_named_barrier, 0
	.set _ZN6thrust23THRUST_200600_302600_NS11hip_rocprim14__parallel_for6kernelILj256ENS1_10for_each_fINS0_6detail15normal_iteratorINS0_10device_ptrIdEEEENS5_16wrapped_functionI21mark_present_for_eachIdEvEEEElLj1EEEvT0_T1_SG_.private_seg_size, 0
	.set _ZN6thrust23THRUST_200600_302600_NS11hip_rocprim14__parallel_for6kernelILj256ENS1_10for_each_fINS0_6detail15normal_iteratorINS0_10device_ptrIdEEEENS5_16wrapped_functionI21mark_present_for_eachIdEvEEEElLj1EEEvT0_T1_SG_.uses_vcc, 1
	.set _ZN6thrust23THRUST_200600_302600_NS11hip_rocprim14__parallel_for6kernelILj256ENS1_10for_each_fINS0_6detail15normal_iteratorINS0_10device_ptrIdEEEENS5_16wrapped_functionI21mark_present_for_eachIdEvEEEElLj1EEEvT0_T1_SG_.uses_flat_scratch, 0
	.set _ZN6thrust23THRUST_200600_302600_NS11hip_rocprim14__parallel_for6kernelILj256ENS1_10for_each_fINS0_6detail15normal_iteratorINS0_10device_ptrIdEEEENS5_16wrapped_functionI21mark_present_for_eachIdEvEEEElLj1EEEvT0_T1_SG_.has_dyn_sized_stack, 0
	.set _ZN6thrust23THRUST_200600_302600_NS11hip_rocprim14__parallel_for6kernelILj256ENS1_10for_each_fINS0_6detail15normal_iteratorINS0_10device_ptrIdEEEENS5_16wrapped_functionI21mark_present_for_eachIdEvEEEElLj1EEEvT0_T1_SG_.has_recursion, 0
	.set _ZN6thrust23THRUST_200600_302600_NS11hip_rocprim14__parallel_for6kernelILj256ENS1_10for_each_fINS0_6detail15normal_iteratorINS0_10device_ptrIdEEEENS5_16wrapped_functionI21mark_present_for_eachIdEvEEEElLj1EEEvT0_T1_SG_.has_indirect_call, 0
	.section	.AMDGPU.csdata,"",@progbits
; Kernel info:
; codeLenInByte = 248
; TotalNumSgprs: 20
; NumVgprs: 4
; ScratchSize: 0
; MemoryBound: 0
; FloatMode: 240
; IeeeMode: 1
; LDSByteSize: 0 bytes/workgroup (compile time only)
; SGPRBlocks: 2
; VGPRBlocks: 0
; NumSGPRsForWavesPerEU: 20
; NumVGPRsForWavesPerEU: 4
; Occupancy: 10
; WaveLimiterHint : 1
; COMPUTE_PGM_RSRC2:SCRATCH_EN: 0
; COMPUTE_PGM_RSRC2:USER_SGPR: 6
; COMPUTE_PGM_RSRC2:TRAP_HANDLER: 0
; COMPUTE_PGM_RSRC2:TGID_X_EN: 1
; COMPUTE_PGM_RSRC2:TGID_Y_EN: 0
; COMPUTE_PGM_RSRC2:TGID_Z_EN: 0
; COMPUTE_PGM_RSRC2:TIDIG_COMP_CNT: 0
	.section	.text._ZN6thrust23THRUST_200600_302600_NS11hip_rocprim14__parallel_for6kernelILj256ENS1_20__uninitialized_fill7functorINS0_10device_ptrIfEEfEEmLj1EEEvT0_T1_SA_,"axG",@progbits,_ZN6thrust23THRUST_200600_302600_NS11hip_rocprim14__parallel_for6kernelILj256ENS1_20__uninitialized_fill7functorINS0_10device_ptrIfEEfEEmLj1EEEvT0_T1_SA_,comdat
	.protected	_ZN6thrust23THRUST_200600_302600_NS11hip_rocprim14__parallel_for6kernelILj256ENS1_20__uninitialized_fill7functorINS0_10device_ptrIfEEfEEmLj1EEEvT0_T1_SA_ ; -- Begin function _ZN6thrust23THRUST_200600_302600_NS11hip_rocprim14__parallel_for6kernelILj256ENS1_20__uninitialized_fill7functorINS0_10device_ptrIfEEfEEmLj1EEEvT0_T1_SA_
	.globl	_ZN6thrust23THRUST_200600_302600_NS11hip_rocprim14__parallel_for6kernelILj256ENS1_20__uninitialized_fill7functorINS0_10device_ptrIfEEfEEmLj1EEEvT0_T1_SA_
	.p2align	8
	.type	_ZN6thrust23THRUST_200600_302600_NS11hip_rocprim14__parallel_for6kernelILj256ENS1_20__uninitialized_fill7functorINS0_10device_ptrIfEEfEEmLj1EEEvT0_T1_SA_,@function
_ZN6thrust23THRUST_200600_302600_NS11hip_rocprim14__parallel_for6kernelILj256ENS1_20__uninitialized_fill7functorINS0_10device_ptrIfEEfEEmLj1EEEvT0_T1_SA_: ; @_ZN6thrust23THRUST_200600_302600_NS11hip_rocprim14__parallel_for6kernelILj256ENS1_20__uninitialized_fill7functorINS0_10device_ptrIfEEfEEmLj1EEEvT0_T1_SA_
; %bb.0:
	s_load_dwordx4 s[12:15], s[4:5], 0x10
	s_load_dwordx2 s[0:1], s[4:5], 0x0
	s_load_dword s8, s[4:5], 0x8
	s_lshl_b32 s2, s6, 8
	v_mov_b32_e32 v1, 0xff
	s_waitcnt lgkmcnt(0)
	s_add_u32 s2, s14, s2
	s_addc_u32 s3, s15, 0
	s_sub_u32 s4, s12, s2
	v_mov_b32_e32 v2, 0
	s_subb_u32 s5, s13, s3
	v_cmp_gt_u64_e32 vcc, s[4:5], v[1:2]
	s_mov_b64 s[6:7], -1
	s_cbranch_vccz .LBB11_3
; %bb.1:
	s_andn2_b64 vcc, exec, s[6:7]
	s_cbranch_vccz .LBB11_6
.LBB11_2:
	s_endpgm
.LBB11_3:
	v_cmp_gt_u32_e32 vcc, s4, v0
	s_and_saveexec_b64 s[4:5], vcc
	s_cbranch_execz .LBB11_5
; %bb.4:
	s_lshl_b64 s[6:7], s[2:3], 2
	s_add_u32 s6, s0, s6
	s_addc_u32 s7, s1, s7
	v_lshlrev_b32_e32 v1, 2, v0
	v_mov_b32_e32 v2, s7
	v_add_co_u32_e32 v1, vcc, s6, v1
	v_addc_co_u32_e32 v2, vcc, 0, v2, vcc
	v_mov_b32_e32 v3, s8
	flat_store_dword v[1:2], v3
.LBB11_5:
	s_or_b64 exec, exec, s[4:5]
	s_cbranch_execnz .LBB11_2
.LBB11_6:
	s_lshl_b64 s[2:3], s[2:3], 2
	s_add_u32 s0, s0, s2
	s_addc_u32 s1, s1, s3
	v_lshlrev_b32_e32 v0, 2, v0
	v_mov_b32_e32 v1, s1
	v_add_co_u32_e32 v0, vcc, s0, v0
	v_addc_co_u32_e32 v1, vcc, 0, v1, vcc
	v_mov_b32_e32 v2, s8
	flat_store_dword v[0:1], v2
	s_endpgm
	.section	.rodata,"a",@progbits
	.p2align	6, 0x0
	.amdhsa_kernel _ZN6thrust23THRUST_200600_302600_NS11hip_rocprim14__parallel_for6kernelILj256ENS1_20__uninitialized_fill7functorINS0_10device_ptrIfEEfEEmLj1EEEvT0_T1_SA_
		.amdhsa_group_segment_fixed_size 0
		.amdhsa_private_segment_fixed_size 0
		.amdhsa_kernarg_size 32
		.amdhsa_user_sgpr_count 6
		.amdhsa_user_sgpr_private_segment_buffer 1
		.amdhsa_user_sgpr_dispatch_ptr 0
		.amdhsa_user_sgpr_queue_ptr 0
		.amdhsa_user_sgpr_kernarg_segment_ptr 1
		.amdhsa_user_sgpr_dispatch_id 0
		.amdhsa_user_sgpr_flat_scratch_init 0
		.amdhsa_user_sgpr_private_segment_size 0
		.amdhsa_uses_dynamic_stack 0
		.amdhsa_system_sgpr_private_segment_wavefront_offset 0
		.amdhsa_system_sgpr_workgroup_id_x 1
		.amdhsa_system_sgpr_workgroup_id_y 0
		.amdhsa_system_sgpr_workgroup_id_z 0
		.amdhsa_system_sgpr_workgroup_info 0
		.amdhsa_system_vgpr_workitem_id 0
		.amdhsa_next_free_vgpr 4
		.amdhsa_next_free_sgpr 16
		.amdhsa_reserve_vcc 1
		.amdhsa_reserve_flat_scratch 0
		.amdhsa_float_round_mode_32 0
		.amdhsa_float_round_mode_16_64 0
		.amdhsa_float_denorm_mode_32 3
		.amdhsa_float_denorm_mode_16_64 3
		.amdhsa_dx10_clamp 1
		.amdhsa_ieee_mode 1
		.amdhsa_fp16_overflow 0
		.amdhsa_exception_fp_ieee_invalid_op 0
		.amdhsa_exception_fp_denorm_src 0
		.amdhsa_exception_fp_ieee_div_zero 0
		.amdhsa_exception_fp_ieee_overflow 0
		.amdhsa_exception_fp_ieee_underflow 0
		.amdhsa_exception_fp_ieee_inexact 0
		.amdhsa_exception_int_div_zero 0
	.end_amdhsa_kernel
	.section	.text._ZN6thrust23THRUST_200600_302600_NS11hip_rocprim14__parallel_for6kernelILj256ENS1_20__uninitialized_fill7functorINS0_10device_ptrIfEEfEEmLj1EEEvT0_T1_SA_,"axG",@progbits,_ZN6thrust23THRUST_200600_302600_NS11hip_rocprim14__parallel_for6kernelILj256ENS1_20__uninitialized_fill7functorINS0_10device_ptrIfEEfEEmLj1EEEvT0_T1_SA_,comdat
.Lfunc_end11:
	.size	_ZN6thrust23THRUST_200600_302600_NS11hip_rocprim14__parallel_for6kernelILj256ENS1_20__uninitialized_fill7functorINS0_10device_ptrIfEEfEEmLj1EEEvT0_T1_SA_, .Lfunc_end11-_ZN6thrust23THRUST_200600_302600_NS11hip_rocprim14__parallel_for6kernelILj256ENS1_20__uninitialized_fill7functorINS0_10device_ptrIfEEfEEmLj1EEEvT0_T1_SA_
                                        ; -- End function
	.set _ZN6thrust23THRUST_200600_302600_NS11hip_rocprim14__parallel_for6kernelILj256ENS1_20__uninitialized_fill7functorINS0_10device_ptrIfEEfEEmLj1EEEvT0_T1_SA_.num_vgpr, 4
	.set _ZN6thrust23THRUST_200600_302600_NS11hip_rocprim14__parallel_for6kernelILj256ENS1_20__uninitialized_fill7functorINS0_10device_ptrIfEEfEEmLj1EEEvT0_T1_SA_.num_agpr, 0
	.set _ZN6thrust23THRUST_200600_302600_NS11hip_rocprim14__parallel_for6kernelILj256ENS1_20__uninitialized_fill7functorINS0_10device_ptrIfEEfEEmLj1EEEvT0_T1_SA_.numbered_sgpr, 16
	.set _ZN6thrust23THRUST_200600_302600_NS11hip_rocprim14__parallel_for6kernelILj256ENS1_20__uninitialized_fill7functorINS0_10device_ptrIfEEfEEmLj1EEEvT0_T1_SA_.num_named_barrier, 0
	.set _ZN6thrust23THRUST_200600_302600_NS11hip_rocprim14__parallel_for6kernelILj256ENS1_20__uninitialized_fill7functorINS0_10device_ptrIfEEfEEmLj1EEEvT0_T1_SA_.private_seg_size, 0
	.set _ZN6thrust23THRUST_200600_302600_NS11hip_rocprim14__parallel_for6kernelILj256ENS1_20__uninitialized_fill7functorINS0_10device_ptrIfEEfEEmLj1EEEvT0_T1_SA_.uses_vcc, 1
	.set _ZN6thrust23THRUST_200600_302600_NS11hip_rocprim14__parallel_for6kernelILj256ENS1_20__uninitialized_fill7functorINS0_10device_ptrIfEEfEEmLj1EEEvT0_T1_SA_.uses_flat_scratch, 0
	.set _ZN6thrust23THRUST_200600_302600_NS11hip_rocprim14__parallel_for6kernelILj256ENS1_20__uninitialized_fill7functorINS0_10device_ptrIfEEfEEmLj1EEEvT0_T1_SA_.has_dyn_sized_stack, 0
	.set _ZN6thrust23THRUST_200600_302600_NS11hip_rocprim14__parallel_for6kernelILj256ENS1_20__uninitialized_fill7functorINS0_10device_ptrIfEEfEEmLj1EEEvT0_T1_SA_.has_recursion, 0
	.set _ZN6thrust23THRUST_200600_302600_NS11hip_rocprim14__parallel_for6kernelILj256ENS1_20__uninitialized_fill7functorINS0_10device_ptrIfEEfEEmLj1EEEvT0_T1_SA_.has_indirect_call, 0
	.section	.AMDGPU.csdata,"",@progbits
; Kernel info:
; codeLenInByte = 188
; TotalNumSgprs: 20
; NumVgprs: 4
; ScratchSize: 0
; MemoryBound: 0
; FloatMode: 240
; IeeeMode: 1
; LDSByteSize: 0 bytes/workgroup (compile time only)
; SGPRBlocks: 2
; VGPRBlocks: 0
; NumSGPRsForWavesPerEU: 20
; NumVGPRsForWavesPerEU: 4
; Occupancy: 10
; WaveLimiterHint : 0
; COMPUTE_PGM_RSRC2:SCRATCH_EN: 0
; COMPUTE_PGM_RSRC2:USER_SGPR: 6
; COMPUTE_PGM_RSRC2:TRAP_HANDLER: 0
; COMPUTE_PGM_RSRC2:TGID_X_EN: 1
; COMPUTE_PGM_RSRC2:TGID_Y_EN: 0
; COMPUTE_PGM_RSRC2:TGID_Z_EN: 0
; COMPUTE_PGM_RSRC2:TIDIG_COMP_CNT: 0
	.section	.text._ZN6thrust23THRUST_200600_302600_NS11hip_rocprim14__parallel_for6kernelILj256ENS1_10for_each_fINS0_6detail15normal_iteratorINS0_10device_ptrIfEEEENS5_16wrapped_functionI21mark_present_for_eachIfEvEEEElLj1EEEvT0_T1_SG_,"axG",@progbits,_ZN6thrust23THRUST_200600_302600_NS11hip_rocprim14__parallel_for6kernelILj256ENS1_10for_each_fINS0_6detail15normal_iteratorINS0_10device_ptrIfEEEENS5_16wrapped_functionI21mark_present_for_eachIfEvEEEElLj1EEEvT0_T1_SG_,comdat
	.protected	_ZN6thrust23THRUST_200600_302600_NS11hip_rocprim14__parallel_for6kernelILj256ENS1_10for_each_fINS0_6detail15normal_iteratorINS0_10device_ptrIfEEEENS5_16wrapped_functionI21mark_present_for_eachIfEvEEEElLj1EEEvT0_T1_SG_ ; -- Begin function _ZN6thrust23THRUST_200600_302600_NS11hip_rocprim14__parallel_for6kernelILj256ENS1_10for_each_fINS0_6detail15normal_iteratorINS0_10device_ptrIfEEEENS5_16wrapped_functionI21mark_present_for_eachIfEvEEEElLj1EEEvT0_T1_SG_
	.globl	_ZN6thrust23THRUST_200600_302600_NS11hip_rocprim14__parallel_for6kernelILj256ENS1_10for_each_fINS0_6detail15normal_iteratorINS0_10device_ptrIfEEEENS5_16wrapped_functionI21mark_present_for_eachIfEvEEEElLj1EEEvT0_T1_SG_
	.p2align	8
	.type	_ZN6thrust23THRUST_200600_302600_NS11hip_rocprim14__parallel_for6kernelILj256ENS1_10for_each_fINS0_6detail15normal_iteratorINS0_10device_ptrIfEEEENS5_16wrapped_functionI21mark_present_for_eachIfEvEEEElLj1EEEvT0_T1_SG_,@function
_ZN6thrust23THRUST_200600_302600_NS11hip_rocprim14__parallel_for6kernelILj256ENS1_10for_each_fINS0_6detail15normal_iteratorINS0_10device_ptrIfEEEENS5_16wrapped_functionI21mark_present_for_eachIfEvEEEElLj1EEEvT0_T1_SG_: ; @_ZN6thrust23THRUST_200600_302600_NS11hip_rocprim14__parallel_for6kernelILj256ENS1_10for_each_fINS0_6detail15normal_iteratorINS0_10device_ptrIfEEEENS5_16wrapped_functionI21mark_present_for_eachIfEvEEEElLj1EEEvT0_T1_SG_
; %bb.0:
	s_load_dwordx8 s[8:15], s[4:5], 0x0
	s_lshl_b32 s0, s6, 8
	v_mov_b32_e32 v1, 0x100
	v_mov_b32_e32 v2, 0
	s_waitcnt lgkmcnt(0)
	s_add_u32 s2, s14, s0
	s_addc_u32 s3, s15, 0
	s_sub_u32 s0, s12, s2
	s_subb_u32 s1, s13, s3
	v_cmp_lt_i64_e32 vcc, s[0:1], v[1:2]
	s_and_b64 s[4:5], vcc, exec
	s_cselect_b32 s0, s0, 0x100
	s_cmpk_eq_i32 s0, 0x100
	s_cbranch_scc1 .LBB12_4
; %bb.1:
	v_cmp_gt_u32_e32 vcc, s0, v0
	s_mov_b64 s[4:5], 0
	s_mov_b64 s[0:1], 0
                                        ; implicit-def: $vgpr1_vgpr2
	s_and_saveexec_b64 s[6:7], vcc
; %bb.2:
	s_lshl_b64 s[12:13], s[2:3], 2
	s_add_u32 s12, s8, s12
	s_addc_u32 s13, s9, s13
	v_lshlrev_b32_e32 v1, 2, v0
	v_mov_b32_e32 v2, s13
	v_add_co_u32_e32 v1, vcc, s12, v1
	s_mov_b64 s[0:1], exec
	v_addc_co_u32_e32 v2, vcc, 0, v2, vcc
; %bb.3:
	s_or_b64 exec, exec, s[6:7]
	s_and_b64 vcc, exec, s[4:5]
	s_cbranch_vccnz .LBB12_5
	s_branch .LBB12_6
.LBB12_4:
	s_mov_b64 s[0:1], 0
                                        ; implicit-def: $vgpr1_vgpr2
	s_cbranch_execz .LBB12_6
.LBB12_5:
	s_lshl_b64 s[2:3], s[2:3], 2
	s_add_u32 s2, s8, s2
	s_addc_u32 s3, s9, s3
	v_lshlrev_b32_e32 v0, 2, v0
	v_mov_b32_e32 v2, s3
	v_add_co_u32_e32 v1, vcc, s2, v0
	v_addc_co_u32_e32 v2, vcc, 0, v2, vcc
	s_or_b64 s[0:1], s[0:1], exec
.LBB12_6:
	s_and_saveexec_b64 s[2:3], s[0:1]
	s_cbranch_execnz .LBB12_8
; %bb.7:
	s_endpgm
.LBB12_8:
	flat_load_dword v0, v[1:2]
	v_mov_b32_e32 v2, s11
	s_waitcnt vmcnt(0) lgkmcnt(0)
	v_cvt_i32_f32_e32 v0, v0
	v_ashrrev_i32_e32 v1, 31, v0
	v_lshlrev_b64 v[0:1], 2, v[0:1]
	v_add_co_u32_e32 v0, vcc, s10, v0
	v_addc_co_u32_e32 v1, vcc, v2, v1, vcc
	v_mov_b32_e32 v2, 1.0
	global_store_dword v[0:1], v2, off
	s_endpgm
	.section	.rodata,"a",@progbits
	.p2align	6, 0x0
	.amdhsa_kernel _ZN6thrust23THRUST_200600_302600_NS11hip_rocprim14__parallel_for6kernelILj256ENS1_10for_each_fINS0_6detail15normal_iteratorINS0_10device_ptrIfEEEENS5_16wrapped_functionI21mark_present_for_eachIfEvEEEElLj1EEEvT0_T1_SG_
		.amdhsa_group_segment_fixed_size 0
		.amdhsa_private_segment_fixed_size 0
		.amdhsa_kernarg_size 32
		.amdhsa_user_sgpr_count 6
		.amdhsa_user_sgpr_private_segment_buffer 1
		.amdhsa_user_sgpr_dispatch_ptr 0
		.amdhsa_user_sgpr_queue_ptr 0
		.amdhsa_user_sgpr_kernarg_segment_ptr 1
		.amdhsa_user_sgpr_dispatch_id 0
		.amdhsa_user_sgpr_flat_scratch_init 0
		.amdhsa_user_sgpr_private_segment_size 0
		.amdhsa_uses_dynamic_stack 0
		.amdhsa_system_sgpr_private_segment_wavefront_offset 0
		.amdhsa_system_sgpr_workgroup_id_x 1
		.amdhsa_system_sgpr_workgroup_id_y 0
		.amdhsa_system_sgpr_workgroup_id_z 0
		.amdhsa_system_sgpr_workgroup_info 0
		.amdhsa_system_vgpr_workitem_id 0
		.amdhsa_next_free_vgpr 3
		.amdhsa_next_free_sgpr 16
		.amdhsa_reserve_vcc 1
		.amdhsa_reserve_flat_scratch 0
		.amdhsa_float_round_mode_32 0
		.amdhsa_float_round_mode_16_64 0
		.amdhsa_float_denorm_mode_32 3
		.amdhsa_float_denorm_mode_16_64 3
		.amdhsa_dx10_clamp 1
		.amdhsa_ieee_mode 1
		.amdhsa_fp16_overflow 0
		.amdhsa_exception_fp_ieee_invalid_op 0
		.amdhsa_exception_fp_denorm_src 0
		.amdhsa_exception_fp_ieee_div_zero 0
		.amdhsa_exception_fp_ieee_overflow 0
		.amdhsa_exception_fp_ieee_underflow 0
		.amdhsa_exception_fp_ieee_inexact 0
		.amdhsa_exception_int_div_zero 0
	.end_amdhsa_kernel
	.section	.text._ZN6thrust23THRUST_200600_302600_NS11hip_rocprim14__parallel_for6kernelILj256ENS1_10for_each_fINS0_6detail15normal_iteratorINS0_10device_ptrIfEEEENS5_16wrapped_functionI21mark_present_for_eachIfEvEEEElLj1EEEvT0_T1_SG_,"axG",@progbits,_ZN6thrust23THRUST_200600_302600_NS11hip_rocprim14__parallel_for6kernelILj256ENS1_10for_each_fINS0_6detail15normal_iteratorINS0_10device_ptrIfEEEENS5_16wrapped_functionI21mark_present_for_eachIfEvEEEElLj1EEEvT0_T1_SG_,comdat
.Lfunc_end12:
	.size	_ZN6thrust23THRUST_200600_302600_NS11hip_rocprim14__parallel_for6kernelILj256ENS1_10for_each_fINS0_6detail15normal_iteratorINS0_10device_ptrIfEEEENS5_16wrapped_functionI21mark_present_for_eachIfEvEEEElLj1EEEvT0_T1_SG_, .Lfunc_end12-_ZN6thrust23THRUST_200600_302600_NS11hip_rocprim14__parallel_for6kernelILj256ENS1_10for_each_fINS0_6detail15normal_iteratorINS0_10device_ptrIfEEEENS5_16wrapped_functionI21mark_present_for_eachIfEvEEEElLj1EEEvT0_T1_SG_
                                        ; -- End function
	.set _ZN6thrust23THRUST_200600_302600_NS11hip_rocprim14__parallel_for6kernelILj256ENS1_10for_each_fINS0_6detail15normal_iteratorINS0_10device_ptrIfEEEENS5_16wrapped_functionI21mark_present_for_eachIfEvEEEElLj1EEEvT0_T1_SG_.num_vgpr, 3
	.set _ZN6thrust23THRUST_200600_302600_NS11hip_rocprim14__parallel_for6kernelILj256ENS1_10for_each_fINS0_6detail15normal_iteratorINS0_10device_ptrIfEEEENS5_16wrapped_functionI21mark_present_for_eachIfEvEEEElLj1EEEvT0_T1_SG_.num_agpr, 0
	.set _ZN6thrust23THRUST_200600_302600_NS11hip_rocprim14__parallel_for6kernelILj256ENS1_10for_each_fINS0_6detail15normal_iteratorINS0_10device_ptrIfEEEENS5_16wrapped_functionI21mark_present_for_eachIfEvEEEElLj1EEEvT0_T1_SG_.numbered_sgpr, 16
	.set _ZN6thrust23THRUST_200600_302600_NS11hip_rocprim14__parallel_for6kernelILj256ENS1_10for_each_fINS0_6detail15normal_iteratorINS0_10device_ptrIfEEEENS5_16wrapped_functionI21mark_present_for_eachIfEvEEEElLj1EEEvT0_T1_SG_.num_named_barrier, 0
	.set _ZN6thrust23THRUST_200600_302600_NS11hip_rocprim14__parallel_for6kernelILj256ENS1_10for_each_fINS0_6detail15normal_iteratorINS0_10device_ptrIfEEEENS5_16wrapped_functionI21mark_present_for_eachIfEvEEEElLj1EEEvT0_T1_SG_.private_seg_size, 0
	.set _ZN6thrust23THRUST_200600_302600_NS11hip_rocprim14__parallel_for6kernelILj256ENS1_10for_each_fINS0_6detail15normal_iteratorINS0_10device_ptrIfEEEENS5_16wrapped_functionI21mark_present_for_eachIfEvEEEElLj1EEEvT0_T1_SG_.uses_vcc, 1
	.set _ZN6thrust23THRUST_200600_302600_NS11hip_rocprim14__parallel_for6kernelILj256ENS1_10for_each_fINS0_6detail15normal_iteratorINS0_10device_ptrIfEEEENS5_16wrapped_functionI21mark_present_for_eachIfEvEEEElLj1EEEvT0_T1_SG_.uses_flat_scratch, 0
	.set _ZN6thrust23THRUST_200600_302600_NS11hip_rocprim14__parallel_for6kernelILj256ENS1_10for_each_fINS0_6detail15normal_iteratorINS0_10device_ptrIfEEEENS5_16wrapped_functionI21mark_present_for_eachIfEvEEEElLj1EEEvT0_T1_SG_.has_dyn_sized_stack, 0
	.set _ZN6thrust23THRUST_200600_302600_NS11hip_rocprim14__parallel_for6kernelILj256ENS1_10for_each_fINS0_6detail15normal_iteratorINS0_10device_ptrIfEEEENS5_16wrapped_functionI21mark_present_for_eachIfEvEEEElLj1EEEvT0_T1_SG_.has_recursion, 0
	.set _ZN6thrust23THRUST_200600_302600_NS11hip_rocprim14__parallel_for6kernelILj256ENS1_10for_each_fINS0_6detail15normal_iteratorINS0_10device_ptrIfEEEENS5_16wrapped_functionI21mark_present_for_eachIfEvEEEElLj1EEEvT0_T1_SG_.has_indirect_call, 0
	.section	.AMDGPU.csdata,"",@progbits
; Kernel info:
; codeLenInByte = 240
; TotalNumSgprs: 20
; NumVgprs: 3
; ScratchSize: 0
; MemoryBound: 0
; FloatMode: 240
; IeeeMode: 1
; LDSByteSize: 0 bytes/workgroup (compile time only)
; SGPRBlocks: 2
; VGPRBlocks: 0
; NumSGPRsForWavesPerEU: 20
; NumVGPRsForWavesPerEU: 3
; Occupancy: 10
; WaveLimiterHint : 1
; COMPUTE_PGM_RSRC2:SCRATCH_EN: 0
; COMPUTE_PGM_RSRC2:USER_SGPR: 6
; COMPUTE_PGM_RSRC2:TRAP_HANDLER: 0
; COMPUTE_PGM_RSRC2:TGID_X_EN: 1
; COMPUTE_PGM_RSRC2:TGID_Y_EN: 0
; COMPUTE_PGM_RSRC2:TGID_Z_EN: 0
; COMPUTE_PGM_RSRC2:TIDIG_COMP_CNT: 0
	.section	.text._ZN6thrust23THRUST_200600_302600_NS11hip_rocprim14__parallel_for6kernelILj256ENS1_20__uninitialized_fill7functorINS0_10device_ptrIyEEyEEmLj1EEEvT0_T1_SA_,"axG",@progbits,_ZN6thrust23THRUST_200600_302600_NS11hip_rocprim14__parallel_for6kernelILj256ENS1_20__uninitialized_fill7functorINS0_10device_ptrIyEEyEEmLj1EEEvT0_T1_SA_,comdat
	.protected	_ZN6thrust23THRUST_200600_302600_NS11hip_rocprim14__parallel_for6kernelILj256ENS1_20__uninitialized_fill7functorINS0_10device_ptrIyEEyEEmLj1EEEvT0_T1_SA_ ; -- Begin function _ZN6thrust23THRUST_200600_302600_NS11hip_rocprim14__parallel_for6kernelILj256ENS1_20__uninitialized_fill7functorINS0_10device_ptrIyEEyEEmLj1EEEvT0_T1_SA_
	.globl	_ZN6thrust23THRUST_200600_302600_NS11hip_rocprim14__parallel_for6kernelILj256ENS1_20__uninitialized_fill7functorINS0_10device_ptrIyEEyEEmLj1EEEvT0_T1_SA_
	.p2align	8
	.type	_ZN6thrust23THRUST_200600_302600_NS11hip_rocprim14__parallel_for6kernelILj256ENS1_20__uninitialized_fill7functorINS0_10device_ptrIyEEyEEmLj1EEEvT0_T1_SA_,@function
_ZN6thrust23THRUST_200600_302600_NS11hip_rocprim14__parallel_for6kernelILj256ENS1_20__uninitialized_fill7functorINS0_10device_ptrIyEEyEEmLj1EEEvT0_T1_SA_: ; @_ZN6thrust23THRUST_200600_302600_NS11hip_rocprim14__parallel_for6kernelILj256ENS1_20__uninitialized_fill7functorINS0_10device_ptrIyEEyEEmLj1EEEvT0_T1_SA_
; %bb.0:
	s_load_dwordx8 s[8:15], s[4:5], 0x0
	s_lshl_b32 s0, s6, 8
	v_mov_b32_e32 v1, 0xff
	v_mov_b32_e32 v2, 0
	s_mov_b64 s[4:5], -1
	s_waitcnt lgkmcnt(0)
	s_add_u32 s0, s14, s0
	s_addc_u32 s1, s15, 0
	s_sub_u32 s2, s12, s0
	s_subb_u32 s3, s13, s1
	v_cmp_gt_u64_e32 vcc, s[2:3], v[1:2]
	s_cbranch_vccz .LBB13_3
; %bb.1:
	s_andn2_b64 vcc, exec, s[4:5]
	s_cbranch_vccz .LBB13_6
.LBB13_2:
	s_endpgm
.LBB13_3:
	v_cmp_gt_u32_e32 vcc, s2, v0
	s_and_saveexec_b64 s[2:3], vcc
	s_cbranch_execz .LBB13_5
; %bb.4:
	s_lshl_b64 s[4:5], s[0:1], 3
	s_add_u32 s4, s8, s4
	s_addc_u32 s5, s9, s5
	v_lshlrev_b32_e32 v1, 3, v0
	v_mov_b32_e32 v2, s5
	v_add_co_u32_e32 v1, vcc, s4, v1
	v_mov_b32_e32 v3, s10
	v_addc_co_u32_e32 v2, vcc, 0, v2, vcc
	v_mov_b32_e32 v4, s11
	flat_store_dwordx2 v[1:2], v[3:4]
.LBB13_5:
	s_or_b64 exec, exec, s[2:3]
	s_cbranch_execnz .LBB13_2
.LBB13_6:
	s_lshl_b64 s[0:1], s[0:1], 3
	s_add_u32 s0, s8, s0
	s_addc_u32 s1, s9, s1
	v_lshlrev_b32_e32 v0, 3, v0
	v_mov_b32_e32 v1, s1
	v_add_co_u32_e32 v0, vcc, s0, v0
	v_mov_b32_e32 v2, s10
	v_addc_co_u32_e32 v1, vcc, 0, v1, vcc
	v_mov_b32_e32 v3, s11
	flat_store_dwordx2 v[0:1], v[2:3]
	s_endpgm
	.section	.rodata,"a",@progbits
	.p2align	6, 0x0
	.amdhsa_kernel _ZN6thrust23THRUST_200600_302600_NS11hip_rocprim14__parallel_for6kernelILj256ENS1_20__uninitialized_fill7functorINS0_10device_ptrIyEEyEEmLj1EEEvT0_T1_SA_
		.amdhsa_group_segment_fixed_size 0
		.amdhsa_private_segment_fixed_size 0
		.amdhsa_kernarg_size 32
		.amdhsa_user_sgpr_count 6
		.amdhsa_user_sgpr_private_segment_buffer 1
		.amdhsa_user_sgpr_dispatch_ptr 0
		.amdhsa_user_sgpr_queue_ptr 0
		.amdhsa_user_sgpr_kernarg_segment_ptr 1
		.amdhsa_user_sgpr_dispatch_id 0
		.amdhsa_user_sgpr_flat_scratch_init 0
		.amdhsa_user_sgpr_private_segment_size 0
		.amdhsa_uses_dynamic_stack 0
		.amdhsa_system_sgpr_private_segment_wavefront_offset 0
		.amdhsa_system_sgpr_workgroup_id_x 1
		.amdhsa_system_sgpr_workgroup_id_y 0
		.amdhsa_system_sgpr_workgroup_id_z 0
		.amdhsa_system_sgpr_workgroup_info 0
		.amdhsa_system_vgpr_workitem_id 0
		.amdhsa_next_free_vgpr 5
		.amdhsa_next_free_sgpr 16
		.amdhsa_reserve_vcc 1
		.amdhsa_reserve_flat_scratch 0
		.amdhsa_float_round_mode_32 0
		.amdhsa_float_round_mode_16_64 0
		.amdhsa_float_denorm_mode_32 3
		.amdhsa_float_denorm_mode_16_64 3
		.amdhsa_dx10_clamp 1
		.amdhsa_ieee_mode 1
		.amdhsa_fp16_overflow 0
		.amdhsa_exception_fp_ieee_invalid_op 0
		.amdhsa_exception_fp_denorm_src 0
		.amdhsa_exception_fp_ieee_div_zero 0
		.amdhsa_exception_fp_ieee_overflow 0
		.amdhsa_exception_fp_ieee_underflow 0
		.amdhsa_exception_fp_ieee_inexact 0
		.amdhsa_exception_int_div_zero 0
	.end_amdhsa_kernel
	.section	.text._ZN6thrust23THRUST_200600_302600_NS11hip_rocprim14__parallel_for6kernelILj256ENS1_20__uninitialized_fill7functorINS0_10device_ptrIyEEyEEmLj1EEEvT0_T1_SA_,"axG",@progbits,_ZN6thrust23THRUST_200600_302600_NS11hip_rocprim14__parallel_for6kernelILj256ENS1_20__uninitialized_fill7functorINS0_10device_ptrIyEEyEEmLj1EEEvT0_T1_SA_,comdat
.Lfunc_end13:
	.size	_ZN6thrust23THRUST_200600_302600_NS11hip_rocprim14__parallel_for6kernelILj256ENS1_20__uninitialized_fill7functorINS0_10device_ptrIyEEyEEmLj1EEEvT0_T1_SA_, .Lfunc_end13-_ZN6thrust23THRUST_200600_302600_NS11hip_rocprim14__parallel_for6kernelILj256ENS1_20__uninitialized_fill7functorINS0_10device_ptrIyEEyEEmLj1EEEvT0_T1_SA_
                                        ; -- End function
	.set _ZN6thrust23THRUST_200600_302600_NS11hip_rocprim14__parallel_for6kernelILj256ENS1_20__uninitialized_fill7functorINS0_10device_ptrIyEEyEEmLj1EEEvT0_T1_SA_.num_vgpr, 5
	.set _ZN6thrust23THRUST_200600_302600_NS11hip_rocprim14__parallel_for6kernelILj256ENS1_20__uninitialized_fill7functorINS0_10device_ptrIyEEyEEmLj1EEEvT0_T1_SA_.num_agpr, 0
	.set _ZN6thrust23THRUST_200600_302600_NS11hip_rocprim14__parallel_for6kernelILj256ENS1_20__uninitialized_fill7functorINS0_10device_ptrIyEEyEEmLj1EEEvT0_T1_SA_.numbered_sgpr, 16
	.set _ZN6thrust23THRUST_200600_302600_NS11hip_rocprim14__parallel_for6kernelILj256ENS1_20__uninitialized_fill7functorINS0_10device_ptrIyEEyEEmLj1EEEvT0_T1_SA_.num_named_barrier, 0
	.set _ZN6thrust23THRUST_200600_302600_NS11hip_rocprim14__parallel_for6kernelILj256ENS1_20__uninitialized_fill7functorINS0_10device_ptrIyEEyEEmLj1EEEvT0_T1_SA_.private_seg_size, 0
	.set _ZN6thrust23THRUST_200600_302600_NS11hip_rocprim14__parallel_for6kernelILj256ENS1_20__uninitialized_fill7functorINS0_10device_ptrIyEEyEEmLj1EEEvT0_T1_SA_.uses_vcc, 1
	.set _ZN6thrust23THRUST_200600_302600_NS11hip_rocprim14__parallel_for6kernelILj256ENS1_20__uninitialized_fill7functorINS0_10device_ptrIyEEyEEmLj1EEEvT0_T1_SA_.uses_flat_scratch, 0
	.set _ZN6thrust23THRUST_200600_302600_NS11hip_rocprim14__parallel_for6kernelILj256ENS1_20__uninitialized_fill7functorINS0_10device_ptrIyEEyEEmLj1EEEvT0_T1_SA_.has_dyn_sized_stack, 0
	.set _ZN6thrust23THRUST_200600_302600_NS11hip_rocprim14__parallel_for6kernelILj256ENS1_20__uninitialized_fill7functorINS0_10device_ptrIyEEyEEmLj1EEEvT0_T1_SA_.has_recursion, 0
	.set _ZN6thrust23THRUST_200600_302600_NS11hip_rocprim14__parallel_for6kernelILj256ENS1_20__uninitialized_fill7functorINS0_10device_ptrIyEEyEEmLj1EEEvT0_T1_SA_.has_indirect_call, 0
	.section	.AMDGPU.csdata,"",@progbits
; Kernel info:
; codeLenInByte = 180
; TotalNumSgprs: 20
; NumVgprs: 5
; ScratchSize: 0
; MemoryBound: 0
; FloatMode: 240
; IeeeMode: 1
; LDSByteSize: 0 bytes/workgroup (compile time only)
; SGPRBlocks: 2
; VGPRBlocks: 1
; NumSGPRsForWavesPerEU: 20
; NumVGPRsForWavesPerEU: 5
; Occupancy: 10
; WaveLimiterHint : 0
; COMPUTE_PGM_RSRC2:SCRATCH_EN: 0
; COMPUTE_PGM_RSRC2:USER_SGPR: 6
; COMPUTE_PGM_RSRC2:TRAP_HANDLER: 0
; COMPUTE_PGM_RSRC2:TGID_X_EN: 1
; COMPUTE_PGM_RSRC2:TGID_Y_EN: 0
; COMPUTE_PGM_RSRC2:TGID_Z_EN: 0
; COMPUTE_PGM_RSRC2:TIDIG_COMP_CNT: 0
	.section	.text._ZN6thrust23THRUST_200600_302600_NS11hip_rocprim14__parallel_for6kernelILj256ENS1_10for_each_fINS0_6detail15normal_iteratorINS0_10device_ptrIyEEEENS5_16wrapped_functionI21mark_present_for_eachIyEvEEEElLj1EEEvT0_T1_SG_,"axG",@progbits,_ZN6thrust23THRUST_200600_302600_NS11hip_rocprim14__parallel_for6kernelILj256ENS1_10for_each_fINS0_6detail15normal_iteratorINS0_10device_ptrIyEEEENS5_16wrapped_functionI21mark_present_for_eachIyEvEEEElLj1EEEvT0_T1_SG_,comdat
	.protected	_ZN6thrust23THRUST_200600_302600_NS11hip_rocprim14__parallel_for6kernelILj256ENS1_10for_each_fINS0_6detail15normal_iteratorINS0_10device_ptrIyEEEENS5_16wrapped_functionI21mark_present_for_eachIyEvEEEElLj1EEEvT0_T1_SG_ ; -- Begin function _ZN6thrust23THRUST_200600_302600_NS11hip_rocprim14__parallel_for6kernelILj256ENS1_10for_each_fINS0_6detail15normal_iteratorINS0_10device_ptrIyEEEENS5_16wrapped_functionI21mark_present_for_eachIyEvEEEElLj1EEEvT0_T1_SG_
	.globl	_ZN6thrust23THRUST_200600_302600_NS11hip_rocprim14__parallel_for6kernelILj256ENS1_10for_each_fINS0_6detail15normal_iteratorINS0_10device_ptrIyEEEENS5_16wrapped_functionI21mark_present_for_eachIyEvEEEElLj1EEEvT0_T1_SG_
	.p2align	8
	.type	_ZN6thrust23THRUST_200600_302600_NS11hip_rocprim14__parallel_for6kernelILj256ENS1_10for_each_fINS0_6detail15normal_iteratorINS0_10device_ptrIyEEEENS5_16wrapped_functionI21mark_present_for_eachIyEvEEEElLj1EEEvT0_T1_SG_,@function
_ZN6thrust23THRUST_200600_302600_NS11hip_rocprim14__parallel_for6kernelILj256ENS1_10for_each_fINS0_6detail15normal_iteratorINS0_10device_ptrIyEEEENS5_16wrapped_functionI21mark_present_for_eachIyEvEEEElLj1EEEvT0_T1_SG_: ; @_ZN6thrust23THRUST_200600_302600_NS11hip_rocprim14__parallel_for6kernelILj256ENS1_10for_each_fINS0_6detail15normal_iteratorINS0_10device_ptrIyEEEENS5_16wrapped_functionI21mark_present_for_eachIyEvEEEElLj1EEEvT0_T1_SG_
; %bb.0:
	s_load_dwordx8 s[8:15], s[4:5], 0x0
	s_lshl_b32 s0, s6, 8
	v_mov_b32_e32 v1, 0x100
	v_mov_b32_e32 v2, 0
	s_waitcnt lgkmcnt(0)
	s_add_u32 s2, s14, s0
	s_addc_u32 s3, s15, 0
	s_sub_u32 s0, s12, s2
	s_subb_u32 s1, s13, s3
	v_cmp_lt_i64_e32 vcc, s[0:1], v[1:2]
	s_and_b64 s[4:5], vcc, exec
	s_cselect_b32 s0, s0, 0x100
	s_cmpk_eq_i32 s0, 0x100
	s_cbranch_scc1 .LBB14_4
; %bb.1:
	v_cmp_gt_u32_e32 vcc, s0, v0
	s_mov_b64 s[4:5], 0
	s_mov_b64 s[0:1], 0
                                        ; implicit-def: $vgpr1_vgpr2
	s_and_saveexec_b64 s[6:7], vcc
; %bb.2:
	s_lshl_b64 s[12:13], s[2:3], 3
	s_add_u32 s12, s8, s12
	s_addc_u32 s13, s9, s13
	v_lshlrev_b32_e32 v1, 3, v0
	v_mov_b32_e32 v2, s13
	v_add_co_u32_e32 v1, vcc, s12, v1
	s_mov_b64 s[0:1], exec
	v_addc_co_u32_e32 v2, vcc, 0, v2, vcc
; %bb.3:
	s_or_b64 exec, exec, s[6:7]
	s_and_b64 vcc, exec, s[4:5]
	s_cbranch_vccnz .LBB14_5
	s_branch .LBB14_6
.LBB14_4:
	s_mov_b64 s[0:1], 0
                                        ; implicit-def: $vgpr1_vgpr2
	s_cbranch_execz .LBB14_6
.LBB14_5:
	s_lshl_b64 s[2:3], s[2:3], 3
	s_add_u32 s2, s8, s2
	s_addc_u32 s3, s9, s3
	v_lshlrev_b32_e32 v0, 3, v0
	v_mov_b32_e32 v2, s3
	v_add_co_u32_e32 v1, vcc, s2, v0
	v_addc_co_u32_e32 v2, vcc, 0, v2, vcc
	s_or_b64 s[0:1], s[0:1], exec
.LBB14_6:
	s_and_saveexec_b64 s[2:3], s[0:1]
	s_cbranch_execnz .LBB14_8
; %bb.7:
	s_endpgm
.LBB14_8:
	flat_load_dword v1, v[1:2]
	v_mov_b32_e32 v0, 0
	v_mov_b32_e32 v6, s11
	;; [unrolled: 1-line block ×3, first 2 shown]
	s_waitcnt vmcnt(0) lgkmcnt(0)
	v_ashrrev_i64 v[3:4], 29, v[0:1]
	v_add_co_u32_e32 v5, vcc, s10, v3
	v_addc_co_u32_e32 v6, vcc, v6, v4, vcc
	v_mov_b32_e32 v3, v0
	global_store_dwordx2 v[5:6], v[2:3], off
	s_endpgm
	.section	.rodata,"a",@progbits
	.p2align	6, 0x0
	.amdhsa_kernel _ZN6thrust23THRUST_200600_302600_NS11hip_rocprim14__parallel_for6kernelILj256ENS1_10for_each_fINS0_6detail15normal_iteratorINS0_10device_ptrIyEEEENS5_16wrapped_functionI21mark_present_for_eachIyEvEEEElLj1EEEvT0_T1_SG_
		.amdhsa_group_segment_fixed_size 0
		.amdhsa_private_segment_fixed_size 0
		.amdhsa_kernarg_size 32
		.amdhsa_user_sgpr_count 6
		.amdhsa_user_sgpr_private_segment_buffer 1
		.amdhsa_user_sgpr_dispatch_ptr 0
		.amdhsa_user_sgpr_queue_ptr 0
		.amdhsa_user_sgpr_kernarg_segment_ptr 1
		.amdhsa_user_sgpr_dispatch_id 0
		.amdhsa_user_sgpr_flat_scratch_init 0
		.amdhsa_user_sgpr_private_segment_size 0
		.amdhsa_uses_dynamic_stack 0
		.amdhsa_system_sgpr_private_segment_wavefront_offset 0
		.amdhsa_system_sgpr_workgroup_id_x 1
		.amdhsa_system_sgpr_workgroup_id_y 0
		.amdhsa_system_sgpr_workgroup_id_z 0
		.amdhsa_system_sgpr_workgroup_info 0
		.amdhsa_system_vgpr_workitem_id 0
		.amdhsa_next_free_vgpr 7
		.amdhsa_next_free_sgpr 16
		.amdhsa_reserve_vcc 1
		.amdhsa_reserve_flat_scratch 0
		.amdhsa_float_round_mode_32 0
		.amdhsa_float_round_mode_16_64 0
		.amdhsa_float_denorm_mode_32 3
		.amdhsa_float_denorm_mode_16_64 3
		.amdhsa_dx10_clamp 1
		.amdhsa_ieee_mode 1
		.amdhsa_fp16_overflow 0
		.amdhsa_exception_fp_ieee_invalid_op 0
		.amdhsa_exception_fp_denorm_src 0
		.amdhsa_exception_fp_ieee_div_zero 0
		.amdhsa_exception_fp_ieee_overflow 0
		.amdhsa_exception_fp_ieee_underflow 0
		.amdhsa_exception_fp_ieee_inexact 0
		.amdhsa_exception_int_div_zero 0
	.end_amdhsa_kernel
	.section	.text._ZN6thrust23THRUST_200600_302600_NS11hip_rocprim14__parallel_for6kernelILj256ENS1_10for_each_fINS0_6detail15normal_iteratorINS0_10device_ptrIyEEEENS5_16wrapped_functionI21mark_present_for_eachIyEvEEEElLj1EEEvT0_T1_SG_,"axG",@progbits,_ZN6thrust23THRUST_200600_302600_NS11hip_rocprim14__parallel_for6kernelILj256ENS1_10for_each_fINS0_6detail15normal_iteratorINS0_10device_ptrIyEEEENS5_16wrapped_functionI21mark_present_for_eachIyEvEEEElLj1EEEvT0_T1_SG_,comdat
.Lfunc_end14:
	.size	_ZN6thrust23THRUST_200600_302600_NS11hip_rocprim14__parallel_for6kernelILj256ENS1_10for_each_fINS0_6detail15normal_iteratorINS0_10device_ptrIyEEEENS5_16wrapped_functionI21mark_present_for_eachIyEvEEEElLj1EEEvT0_T1_SG_, .Lfunc_end14-_ZN6thrust23THRUST_200600_302600_NS11hip_rocprim14__parallel_for6kernelILj256ENS1_10for_each_fINS0_6detail15normal_iteratorINS0_10device_ptrIyEEEENS5_16wrapped_functionI21mark_present_for_eachIyEvEEEElLj1EEEvT0_T1_SG_
                                        ; -- End function
	.set _ZN6thrust23THRUST_200600_302600_NS11hip_rocprim14__parallel_for6kernelILj256ENS1_10for_each_fINS0_6detail15normal_iteratorINS0_10device_ptrIyEEEENS5_16wrapped_functionI21mark_present_for_eachIyEvEEEElLj1EEEvT0_T1_SG_.num_vgpr, 7
	.set _ZN6thrust23THRUST_200600_302600_NS11hip_rocprim14__parallel_for6kernelILj256ENS1_10for_each_fINS0_6detail15normal_iteratorINS0_10device_ptrIyEEEENS5_16wrapped_functionI21mark_present_for_eachIyEvEEEElLj1EEEvT0_T1_SG_.num_agpr, 0
	.set _ZN6thrust23THRUST_200600_302600_NS11hip_rocprim14__parallel_for6kernelILj256ENS1_10for_each_fINS0_6detail15normal_iteratorINS0_10device_ptrIyEEEENS5_16wrapped_functionI21mark_present_for_eachIyEvEEEElLj1EEEvT0_T1_SG_.numbered_sgpr, 16
	.set _ZN6thrust23THRUST_200600_302600_NS11hip_rocprim14__parallel_for6kernelILj256ENS1_10for_each_fINS0_6detail15normal_iteratorINS0_10device_ptrIyEEEENS5_16wrapped_functionI21mark_present_for_eachIyEvEEEElLj1EEEvT0_T1_SG_.num_named_barrier, 0
	.set _ZN6thrust23THRUST_200600_302600_NS11hip_rocprim14__parallel_for6kernelILj256ENS1_10for_each_fINS0_6detail15normal_iteratorINS0_10device_ptrIyEEEENS5_16wrapped_functionI21mark_present_for_eachIyEvEEEElLj1EEEvT0_T1_SG_.private_seg_size, 0
	.set _ZN6thrust23THRUST_200600_302600_NS11hip_rocprim14__parallel_for6kernelILj256ENS1_10for_each_fINS0_6detail15normal_iteratorINS0_10device_ptrIyEEEENS5_16wrapped_functionI21mark_present_for_eachIyEvEEEElLj1EEEvT0_T1_SG_.uses_vcc, 1
	.set _ZN6thrust23THRUST_200600_302600_NS11hip_rocprim14__parallel_for6kernelILj256ENS1_10for_each_fINS0_6detail15normal_iteratorINS0_10device_ptrIyEEEENS5_16wrapped_functionI21mark_present_for_eachIyEvEEEElLj1EEEvT0_T1_SG_.uses_flat_scratch, 0
	.set _ZN6thrust23THRUST_200600_302600_NS11hip_rocprim14__parallel_for6kernelILj256ENS1_10for_each_fINS0_6detail15normal_iteratorINS0_10device_ptrIyEEEENS5_16wrapped_functionI21mark_present_for_eachIyEvEEEElLj1EEEvT0_T1_SG_.has_dyn_sized_stack, 0
	.set _ZN6thrust23THRUST_200600_302600_NS11hip_rocprim14__parallel_for6kernelILj256ENS1_10for_each_fINS0_6detail15normal_iteratorINS0_10device_ptrIyEEEENS5_16wrapped_functionI21mark_present_for_eachIyEvEEEElLj1EEEvT0_T1_SG_.has_recursion, 0
	.set _ZN6thrust23THRUST_200600_302600_NS11hip_rocprim14__parallel_for6kernelILj256ENS1_10for_each_fINS0_6detail15normal_iteratorINS0_10device_ptrIyEEEENS5_16wrapped_functionI21mark_present_for_eachIyEvEEEElLj1EEEvT0_T1_SG_.has_indirect_call, 0
	.section	.AMDGPU.csdata,"",@progbits
; Kernel info:
; codeLenInByte = 240
; TotalNumSgprs: 20
; NumVgprs: 7
; ScratchSize: 0
; MemoryBound: 0
; FloatMode: 240
; IeeeMode: 1
; LDSByteSize: 0 bytes/workgroup (compile time only)
; SGPRBlocks: 2
; VGPRBlocks: 1
; NumSGPRsForWavesPerEU: 20
; NumVGPRsForWavesPerEU: 7
; Occupancy: 10
; WaveLimiterHint : 1
; COMPUTE_PGM_RSRC2:SCRATCH_EN: 0
; COMPUTE_PGM_RSRC2:USER_SGPR: 6
; COMPUTE_PGM_RSRC2:TRAP_HANDLER: 0
; COMPUTE_PGM_RSRC2:TGID_X_EN: 1
; COMPUTE_PGM_RSRC2:TGID_Y_EN: 0
; COMPUTE_PGM_RSRC2:TGID_Z_EN: 0
; COMPUTE_PGM_RSRC2:TIDIG_COMP_CNT: 0
	.section	.text._ZN6thrust23THRUST_200600_302600_NS11hip_rocprim14__parallel_for6kernelILj256ENS1_20__uninitialized_fill7functorINS0_10device_ptrIjEEjEEmLj1EEEvT0_T1_SA_,"axG",@progbits,_ZN6thrust23THRUST_200600_302600_NS11hip_rocprim14__parallel_for6kernelILj256ENS1_20__uninitialized_fill7functorINS0_10device_ptrIjEEjEEmLj1EEEvT0_T1_SA_,comdat
	.protected	_ZN6thrust23THRUST_200600_302600_NS11hip_rocprim14__parallel_for6kernelILj256ENS1_20__uninitialized_fill7functorINS0_10device_ptrIjEEjEEmLj1EEEvT0_T1_SA_ ; -- Begin function _ZN6thrust23THRUST_200600_302600_NS11hip_rocprim14__parallel_for6kernelILj256ENS1_20__uninitialized_fill7functorINS0_10device_ptrIjEEjEEmLj1EEEvT0_T1_SA_
	.globl	_ZN6thrust23THRUST_200600_302600_NS11hip_rocprim14__parallel_for6kernelILj256ENS1_20__uninitialized_fill7functorINS0_10device_ptrIjEEjEEmLj1EEEvT0_T1_SA_
	.p2align	8
	.type	_ZN6thrust23THRUST_200600_302600_NS11hip_rocprim14__parallel_for6kernelILj256ENS1_20__uninitialized_fill7functorINS0_10device_ptrIjEEjEEmLj1EEEvT0_T1_SA_,@function
_ZN6thrust23THRUST_200600_302600_NS11hip_rocprim14__parallel_for6kernelILj256ENS1_20__uninitialized_fill7functorINS0_10device_ptrIjEEjEEmLj1EEEvT0_T1_SA_: ; @_ZN6thrust23THRUST_200600_302600_NS11hip_rocprim14__parallel_for6kernelILj256ENS1_20__uninitialized_fill7functorINS0_10device_ptrIjEEjEEmLj1EEEvT0_T1_SA_
; %bb.0:
	s_load_dwordx4 s[12:15], s[4:5], 0x10
	s_load_dwordx2 s[0:1], s[4:5], 0x0
	s_load_dword s8, s[4:5], 0x8
	s_lshl_b32 s2, s6, 8
	v_mov_b32_e32 v1, 0xff
	s_waitcnt lgkmcnt(0)
	s_add_u32 s2, s14, s2
	s_addc_u32 s3, s15, 0
	s_sub_u32 s4, s12, s2
	v_mov_b32_e32 v2, 0
	s_subb_u32 s5, s13, s3
	v_cmp_gt_u64_e32 vcc, s[4:5], v[1:2]
	s_mov_b64 s[6:7], -1
	s_cbranch_vccz .LBB15_3
; %bb.1:
	s_andn2_b64 vcc, exec, s[6:7]
	s_cbranch_vccz .LBB15_6
.LBB15_2:
	s_endpgm
.LBB15_3:
	v_cmp_gt_u32_e32 vcc, s4, v0
	s_and_saveexec_b64 s[4:5], vcc
	s_cbranch_execz .LBB15_5
; %bb.4:
	s_lshl_b64 s[6:7], s[2:3], 2
	s_add_u32 s6, s0, s6
	s_addc_u32 s7, s1, s7
	v_lshlrev_b32_e32 v1, 2, v0
	v_mov_b32_e32 v2, s7
	v_add_co_u32_e32 v1, vcc, s6, v1
	v_addc_co_u32_e32 v2, vcc, 0, v2, vcc
	v_mov_b32_e32 v3, s8
	flat_store_dword v[1:2], v3
.LBB15_5:
	s_or_b64 exec, exec, s[4:5]
	s_cbranch_execnz .LBB15_2
.LBB15_6:
	s_lshl_b64 s[2:3], s[2:3], 2
	s_add_u32 s0, s0, s2
	s_addc_u32 s1, s1, s3
	v_lshlrev_b32_e32 v0, 2, v0
	v_mov_b32_e32 v1, s1
	v_add_co_u32_e32 v0, vcc, s0, v0
	v_addc_co_u32_e32 v1, vcc, 0, v1, vcc
	v_mov_b32_e32 v2, s8
	flat_store_dword v[0:1], v2
	s_endpgm
	.section	.rodata,"a",@progbits
	.p2align	6, 0x0
	.amdhsa_kernel _ZN6thrust23THRUST_200600_302600_NS11hip_rocprim14__parallel_for6kernelILj256ENS1_20__uninitialized_fill7functorINS0_10device_ptrIjEEjEEmLj1EEEvT0_T1_SA_
		.amdhsa_group_segment_fixed_size 0
		.amdhsa_private_segment_fixed_size 0
		.amdhsa_kernarg_size 32
		.amdhsa_user_sgpr_count 6
		.amdhsa_user_sgpr_private_segment_buffer 1
		.amdhsa_user_sgpr_dispatch_ptr 0
		.amdhsa_user_sgpr_queue_ptr 0
		.amdhsa_user_sgpr_kernarg_segment_ptr 1
		.amdhsa_user_sgpr_dispatch_id 0
		.amdhsa_user_sgpr_flat_scratch_init 0
		.amdhsa_user_sgpr_private_segment_size 0
		.amdhsa_uses_dynamic_stack 0
		.amdhsa_system_sgpr_private_segment_wavefront_offset 0
		.amdhsa_system_sgpr_workgroup_id_x 1
		.amdhsa_system_sgpr_workgroup_id_y 0
		.amdhsa_system_sgpr_workgroup_id_z 0
		.amdhsa_system_sgpr_workgroup_info 0
		.amdhsa_system_vgpr_workitem_id 0
		.amdhsa_next_free_vgpr 4
		.amdhsa_next_free_sgpr 16
		.amdhsa_reserve_vcc 1
		.amdhsa_reserve_flat_scratch 0
		.amdhsa_float_round_mode_32 0
		.amdhsa_float_round_mode_16_64 0
		.amdhsa_float_denorm_mode_32 3
		.amdhsa_float_denorm_mode_16_64 3
		.amdhsa_dx10_clamp 1
		.amdhsa_ieee_mode 1
		.amdhsa_fp16_overflow 0
		.amdhsa_exception_fp_ieee_invalid_op 0
		.amdhsa_exception_fp_denorm_src 0
		.amdhsa_exception_fp_ieee_div_zero 0
		.amdhsa_exception_fp_ieee_overflow 0
		.amdhsa_exception_fp_ieee_underflow 0
		.amdhsa_exception_fp_ieee_inexact 0
		.amdhsa_exception_int_div_zero 0
	.end_amdhsa_kernel
	.section	.text._ZN6thrust23THRUST_200600_302600_NS11hip_rocprim14__parallel_for6kernelILj256ENS1_20__uninitialized_fill7functorINS0_10device_ptrIjEEjEEmLj1EEEvT0_T1_SA_,"axG",@progbits,_ZN6thrust23THRUST_200600_302600_NS11hip_rocprim14__parallel_for6kernelILj256ENS1_20__uninitialized_fill7functorINS0_10device_ptrIjEEjEEmLj1EEEvT0_T1_SA_,comdat
.Lfunc_end15:
	.size	_ZN6thrust23THRUST_200600_302600_NS11hip_rocprim14__parallel_for6kernelILj256ENS1_20__uninitialized_fill7functorINS0_10device_ptrIjEEjEEmLj1EEEvT0_T1_SA_, .Lfunc_end15-_ZN6thrust23THRUST_200600_302600_NS11hip_rocprim14__parallel_for6kernelILj256ENS1_20__uninitialized_fill7functorINS0_10device_ptrIjEEjEEmLj1EEEvT0_T1_SA_
                                        ; -- End function
	.set _ZN6thrust23THRUST_200600_302600_NS11hip_rocprim14__parallel_for6kernelILj256ENS1_20__uninitialized_fill7functorINS0_10device_ptrIjEEjEEmLj1EEEvT0_T1_SA_.num_vgpr, 4
	.set _ZN6thrust23THRUST_200600_302600_NS11hip_rocprim14__parallel_for6kernelILj256ENS1_20__uninitialized_fill7functorINS0_10device_ptrIjEEjEEmLj1EEEvT0_T1_SA_.num_agpr, 0
	.set _ZN6thrust23THRUST_200600_302600_NS11hip_rocprim14__parallel_for6kernelILj256ENS1_20__uninitialized_fill7functorINS0_10device_ptrIjEEjEEmLj1EEEvT0_T1_SA_.numbered_sgpr, 16
	.set _ZN6thrust23THRUST_200600_302600_NS11hip_rocprim14__parallel_for6kernelILj256ENS1_20__uninitialized_fill7functorINS0_10device_ptrIjEEjEEmLj1EEEvT0_T1_SA_.num_named_barrier, 0
	.set _ZN6thrust23THRUST_200600_302600_NS11hip_rocprim14__parallel_for6kernelILj256ENS1_20__uninitialized_fill7functorINS0_10device_ptrIjEEjEEmLj1EEEvT0_T1_SA_.private_seg_size, 0
	.set _ZN6thrust23THRUST_200600_302600_NS11hip_rocprim14__parallel_for6kernelILj256ENS1_20__uninitialized_fill7functorINS0_10device_ptrIjEEjEEmLj1EEEvT0_T1_SA_.uses_vcc, 1
	.set _ZN6thrust23THRUST_200600_302600_NS11hip_rocprim14__parallel_for6kernelILj256ENS1_20__uninitialized_fill7functorINS0_10device_ptrIjEEjEEmLj1EEEvT0_T1_SA_.uses_flat_scratch, 0
	.set _ZN6thrust23THRUST_200600_302600_NS11hip_rocprim14__parallel_for6kernelILj256ENS1_20__uninitialized_fill7functorINS0_10device_ptrIjEEjEEmLj1EEEvT0_T1_SA_.has_dyn_sized_stack, 0
	.set _ZN6thrust23THRUST_200600_302600_NS11hip_rocprim14__parallel_for6kernelILj256ENS1_20__uninitialized_fill7functorINS0_10device_ptrIjEEjEEmLj1EEEvT0_T1_SA_.has_recursion, 0
	.set _ZN6thrust23THRUST_200600_302600_NS11hip_rocprim14__parallel_for6kernelILj256ENS1_20__uninitialized_fill7functorINS0_10device_ptrIjEEjEEmLj1EEEvT0_T1_SA_.has_indirect_call, 0
	.section	.AMDGPU.csdata,"",@progbits
; Kernel info:
; codeLenInByte = 188
; TotalNumSgprs: 20
; NumVgprs: 4
; ScratchSize: 0
; MemoryBound: 0
; FloatMode: 240
; IeeeMode: 1
; LDSByteSize: 0 bytes/workgroup (compile time only)
; SGPRBlocks: 2
; VGPRBlocks: 0
; NumSGPRsForWavesPerEU: 20
; NumVGPRsForWavesPerEU: 4
; Occupancy: 10
; WaveLimiterHint : 0
; COMPUTE_PGM_RSRC2:SCRATCH_EN: 0
; COMPUTE_PGM_RSRC2:USER_SGPR: 6
; COMPUTE_PGM_RSRC2:TRAP_HANDLER: 0
; COMPUTE_PGM_RSRC2:TGID_X_EN: 1
; COMPUTE_PGM_RSRC2:TGID_Y_EN: 0
; COMPUTE_PGM_RSRC2:TGID_Z_EN: 0
; COMPUTE_PGM_RSRC2:TIDIG_COMP_CNT: 0
	.section	.text._ZN6thrust23THRUST_200600_302600_NS11hip_rocprim14__parallel_for6kernelILj256ENS1_10for_each_fINS0_6detail15normal_iteratorINS0_10device_ptrIjEEEENS5_16wrapped_functionI21mark_present_for_eachIjEvEEEElLj1EEEvT0_T1_SG_,"axG",@progbits,_ZN6thrust23THRUST_200600_302600_NS11hip_rocprim14__parallel_for6kernelILj256ENS1_10for_each_fINS0_6detail15normal_iteratorINS0_10device_ptrIjEEEENS5_16wrapped_functionI21mark_present_for_eachIjEvEEEElLj1EEEvT0_T1_SG_,comdat
	.protected	_ZN6thrust23THRUST_200600_302600_NS11hip_rocprim14__parallel_for6kernelILj256ENS1_10for_each_fINS0_6detail15normal_iteratorINS0_10device_ptrIjEEEENS5_16wrapped_functionI21mark_present_for_eachIjEvEEEElLj1EEEvT0_T1_SG_ ; -- Begin function _ZN6thrust23THRUST_200600_302600_NS11hip_rocprim14__parallel_for6kernelILj256ENS1_10for_each_fINS0_6detail15normal_iteratorINS0_10device_ptrIjEEEENS5_16wrapped_functionI21mark_present_for_eachIjEvEEEElLj1EEEvT0_T1_SG_
	.globl	_ZN6thrust23THRUST_200600_302600_NS11hip_rocprim14__parallel_for6kernelILj256ENS1_10for_each_fINS0_6detail15normal_iteratorINS0_10device_ptrIjEEEENS5_16wrapped_functionI21mark_present_for_eachIjEvEEEElLj1EEEvT0_T1_SG_
	.p2align	8
	.type	_ZN6thrust23THRUST_200600_302600_NS11hip_rocprim14__parallel_for6kernelILj256ENS1_10for_each_fINS0_6detail15normal_iteratorINS0_10device_ptrIjEEEENS5_16wrapped_functionI21mark_present_for_eachIjEvEEEElLj1EEEvT0_T1_SG_,@function
_ZN6thrust23THRUST_200600_302600_NS11hip_rocprim14__parallel_for6kernelILj256ENS1_10for_each_fINS0_6detail15normal_iteratorINS0_10device_ptrIjEEEENS5_16wrapped_functionI21mark_present_for_eachIjEvEEEElLj1EEEvT0_T1_SG_: ; @_ZN6thrust23THRUST_200600_302600_NS11hip_rocprim14__parallel_for6kernelILj256ENS1_10for_each_fINS0_6detail15normal_iteratorINS0_10device_ptrIjEEEENS5_16wrapped_functionI21mark_present_for_eachIjEvEEEElLj1EEEvT0_T1_SG_
; %bb.0:
	s_load_dwordx8 s[8:15], s[4:5], 0x0
	s_lshl_b32 s0, s6, 8
	v_mov_b32_e32 v1, 0x100
	v_mov_b32_e32 v2, 0
	s_waitcnt lgkmcnt(0)
	s_add_u32 s2, s14, s0
	s_addc_u32 s3, s15, 0
	s_sub_u32 s0, s12, s2
	s_subb_u32 s1, s13, s3
	v_cmp_lt_i64_e32 vcc, s[0:1], v[1:2]
	s_and_b64 s[4:5], vcc, exec
	s_cselect_b32 s0, s0, 0x100
	s_cmpk_eq_i32 s0, 0x100
	s_cbranch_scc1 .LBB16_4
; %bb.1:
	v_cmp_gt_u32_e32 vcc, s0, v0
	s_mov_b64 s[4:5], 0
	s_mov_b64 s[0:1], 0
                                        ; implicit-def: $vgpr1_vgpr2
	s_and_saveexec_b64 s[6:7], vcc
; %bb.2:
	s_lshl_b64 s[12:13], s[2:3], 2
	s_add_u32 s12, s8, s12
	s_addc_u32 s13, s9, s13
	v_lshlrev_b32_e32 v1, 2, v0
	v_mov_b32_e32 v2, s13
	v_add_co_u32_e32 v1, vcc, s12, v1
	s_mov_b64 s[0:1], exec
	v_addc_co_u32_e32 v2, vcc, 0, v2, vcc
; %bb.3:
	s_or_b64 exec, exec, s[6:7]
	s_and_b64 vcc, exec, s[4:5]
	s_cbranch_vccnz .LBB16_5
	s_branch .LBB16_6
.LBB16_4:
	s_mov_b64 s[0:1], 0
                                        ; implicit-def: $vgpr1_vgpr2
	s_cbranch_execz .LBB16_6
.LBB16_5:
	s_lshl_b64 s[2:3], s[2:3], 2
	s_add_u32 s2, s8, s2
	s_addc_u32 s3, s9, s3
	v_lshlrev_b32_e32 v0, 2, v0
	v_mov_b32_e32 v2, s3
	v_add_co_u32_e32 v1, vcc, s2, v0
	v_addc_co_u32_e32 v2, vcc, 0, v2, vcc
	s_or_b64 s[0:1], s[0:1], exec
.LBB16_6:
	s_and_saveexec_b64 s[2:3], s[0:1]
	s_cbranch_execnz .LBB16_8
; %bb.7:
	s_endpgm
.LBB16_8:
	flat_load_dword v0, v[1:2]
	v_mov_b32_e32 v2, s11
	s_waitcnt vmcnt(0) lgkmcnt(0)
	v_ashrrev_i32_e32 v1, 31, v0
	v_lshlrev_b64 v[0:1], 2, v[0:1]
	v_add_co_u32_e32 v0, vcc, s10, v0
	v_addc_co_u32_e32 v1, vcc, v2, v1, vcc
	v_mov_b32_e32 v2, 1
	global_store_dword v[0:1], v2, off
	s_endpgm
	.section	.rodata,"a",@progbits
	.p2align	6, 0x0
	.amdhsa_kernel _ZN6thrust23THRUST_200600_302600_NS11hip_rocprim14__parallel_for6kernelILj256ENS1_10for_each_fINS0_6detail15normal_iteratorINS0_10device_ptrIjEEEENS5_16wrapped_functionI21mark_present_for_eachIjEvEEEElLj1EEEvT0_T1_SG_
		.amdhsa_group_segment_fixed_size 0
		.amdhsa_private_segment_fixed_size 0
		.amdhsa_kernarg_size 32
		.amdhsa_user_sgpr_count 6
		.amdhsa_user_sgpr_private_segment_buffer 1
		.amdhsa_user_sgpr_dispatch_ptr 0
		.amdhsa_user_sgpr_queue_ptr 0
		.amdhsa_user_sgpr_kernarg_segment_ptr 1
		.amdhsa_user_sgpr_dispatch_id 0
		.amdhsa_user_sgpr_flat_scratch_init 0
		.amdhsa_user_sgpr_private_segment_size 0
		.amdhsa_uses_dynamic_stack 0
		.amdhsa_system_sgpr_private_segment_wavefront_offset 0
		.amdhsa_system_sgpr_workgroup_id_x 1
		.amdhsa_system_sgpr_workgroup_id_y 0
		.amdhsa_system_sgpr_workgroup_id_z 0
		.amdhsa_system_sgpr_workgroup_info 0
		.amdhsa_system_vgpr_workitem_id 0
		.amdhsa_next_free_vgpr 3
		.amdhsa_next_free_sgpr 16
		.amdhsa_reserve_vcc 1
		.amdhsa_reserve_flat_scratch 0
		.amdhsa_float_round_mode_32 0
		.amdhsa_float_round_mode_16_64 0
		.amdhsa_float_denorm_mode_32 3
		.amdhsa_float_denorm_mode_16_64 3
		.amdhsa_dx10_clamp 1
		.amdhsa_ieee_mode 1
		.amdhsa_fp16_overflow 0
		.amdhsa_exception_fp_ieee_invalid_op 0
		.amdhsa_exception_fp_denorm_src 0
		.amdhsa_exception_fp_ieee_div_zero 0
		.amdhsa_exception_fp_ieee_overflow 0
		.amdhsa_exception_fp_ieee_underflow 0
		.amdhsa_exception_fp_ieee_inexact 0
		.amdhsa_exception_int_div_zero 0
	.end_amdhsa_kernel
	.section	.text._ZN6thrust23THRUST_200600_302600_NS11hip_rocprim14__parallel_for6kernelILj256ENS1_10for_each_fINS0_6detail15normal_iteratorINS0_10device_ptrIjEEEENS5_16wrapped_functionI21mark_present_for_eachIjEvEEEElLj1EEEvT0_T1_SG_,"axG",@progbits,_ZN6thrust23THRUST_200600_302600_NS11hip_rocprim14__parallel_for6kernelILj256ENS1_10for_each_fINS0_6detail15normal_iteratorINS0_10device_ptrIjEEEENS5_16wrapped_functionI21mark_present_for_eachIjEvEEEElLj1EEEvT0_T1_SG_,comdat
.Lfunc_end16:
	.size	_ZN6thrust23THRUST_200600_302600_NS11hip_rocprim14__parallel_for6kernelILj256ENS1_10for_each_fINS0_6detail15normal_iteratorINS0_10device_ptrIjEEEENS5_16wrapped_functionI21mark_present_for_eachIjEvEEEElLj1EEEvT0_T1_SG_, .Lfunc_end16-_ZN6thrust23THRUST_200600_302600_NS11hip_rocprim14__parallel_for6kernelILj256ENS1_10for_each_fINS0_6detail15normal_iteratorINS0_10device_ptrIjEEEENS5_16wrapped_functionI21mark_present_for_eachIjEvEEEElLj1EEEvT0_T1_SG_
                                        ; -- End function
	.set _ZN6thrust23THRUST_200600_302600_NS11hip_rocprim14__parallel_for6kernelILj256ENS1_10for_each_fINS0_6detail15normal_iteratorINS0_10device_ptrIjEEEENS5_16wrapped_functionI21mark_present_for_eachIjEvEEEElLj1EEEvT0_T1_SG_.num_vgpr, 3
	.set _ZN6thrust23THRUST_200600_302600_NS11hip_rocprim14__parallel_for6kernelILj256ENS1_10for_each_fINS0_6detail15normal_iteratorINS0_10device_ptrIjEEEENS5_16wrapped_functionI21mark_present_for_eachIjEvEEEElLj1EEEvT0_T1_SG_.num_agpr, 0
	.set _ZN6thrust23THRUST_200600_302600_NS11hip_rocprim14__parallel_for6kernelILj256ENS1_10for_each_fINS0_6detail15normal_iteratorINS0_10device_ptrIjEEEENS5_16wrapped_functionI21mark_present_for_eachIjEvEEEElLj1EEEvT0_T1_SG_.numbered_sgpr, 16
	.set _ZN6thrust23THRUST_200600_302600_NS11hip_rocprim14__parallel_for6kernelILj256ENS1_10for_each_fINS0_6detail15normal_iteratorINS0_10device_ptrIjEEEENS5_16wrapped_functionI21mark_present_for_eachIjEvEEEElLj1EEEvT0_T1_SG_.num_named_barrier, 0
	.set _ZN6thrust23THRUST_200600_302600_NS11hip_rocprim14__parallel_for6kernelILj256ENS1_10for_each_fINS0_6detail15normal_iteratorINS0_10device_ptrIjEEEENS5_16wrapped_functionI21mark_present_for_eachIjEvEEEElLj1EEEvT0_T1_SG_.private_seg_size, 0
	.set _ZN6thrust23THRUST_200600_302600_NS11hip_rocprim14__parallel_for6kernelILj256ENS1_10for_each_fINS0_6detail15normal_iteratorINS0_10device_ptrIjEEEENS5_16wrapped_functionI21mark_present_for_eachIjEvEEEElLj1EEEvT0_T1_SG_.uses_vcc, 1
	.set _ZN6thrust23THRUST_200600_302600_NS11hip_rocprim14__parallel_for6kernelILj256ENS1_10for_each_fINS0_6detail15normal_iteratorINS0_10device_ptrIjEEEENS5_16wrapped_functionI21mark_present_for_eachIjEvEEEElLj1EEEvT0_T1_SG_.uses_flat_scratch, 0
	.set _ZN6thrust23THRUST_200600_302600_NS11hip_rocprim14__parallel_for6kernelILj256ENS1_10for_each_fINS0_6detail15normal_iteratorINS0_10device_ptrIjEEEENS5_16wrapped_functionI21mark_present_for_eachIjEvEEEElLj1EEEvT0_T1_SG_.has_dyn_sized_stack, 0
	.set _ZN6thrust23THRUST_200600_302600_NS11hip_rocprim14__parallel_for6kernelILj256ENS1_10for_each_fINS0_6detail15normal_iteratorINS0_10device_ptrIjEEEENS5_16wrapped_functionI21mark_present_for_eachIjEvEEEElLj1EEEvT0_T1_SG_.has_recursion, 0
	.set _ZN6thrust23THRUST_200600_302600_NS11hip_rocprim14__parallel_for6kernelILj256ENS1_10for_each_fINS0_6detail15normal_iteratorINS0_10device_ptrIjEEEENS5_16wrapped_functionI21mark_present_for_eachIjEvEEEElLj1EEEvT0_T1_SG_.has_indirect_call, 0
	.section	.AMDGPU.csdata,"",@progbits
; Kernel info:
; codeLenInByte = 236
; TotalNumSgprs: 20
; NumVgprs: 3
; ScratchSize: 0
; MemoryBound: 0
; FloatMode: 240
; IeeeMode: 1
; LDSByteSize: 0 bytes/workgroup (compile time only)
; SGPRBlocks: 2
; VGPRBlocks: 0
; NumSGPRsForWavesPerEU: 20
; NumVGPRsForWavesPerEU: 3
; Occupancy: 10
; WaveLimiterHint : 1
; COMPUTE_PGM_RSRC2:SCRATCH_EN: 0
; COMPUTE_PGM_RSRC2:USER_SGPR: 6
; COMPUTE_PGM_RSRC2:TRAP_HANDLER: 0
; COMPUTE_PGM_RSRC2:TGID_X_EN: 1
; COMPUTE_PGM_RSRC2:TGID_Y_EN: 0
; COMPUTE_PGM_RSRC2:TGID_Z_EN: 0
; COMPUTE_PGM_RSRC2:TIDIG_COMP_CNT: 0
	.section	.text._ZN6thrust23THRUST_200600_302600_NS11hip_rocprim14__parallel_for6kernelILj256ENS1_20__uninitialized_fill7functorINS0_10device_ptrItEEtEEmLj1EEEvT0_T1_SA_,"axG",@progbits,_ZN6thrust23THRUST_200600_302600_NS11hip_rocprim14__parallel_for6kernelILj256ENS1_20__uninitialized_fill7functorINS0_10device_ptrItEEtEEmLj1EEEvT0_T1_SA_,comdat
	.protected	_ZN6thrust23THRUST_200600_302600_NS11hip_rocprim14__parallel_for6kernelILj256ENS1_20__uninitialized_fill7functorINS0_10device_ptrItEEtEEmLj1EEEvT0_T1_SA_ ; -- Begin function _ZN6thrust23THRUST_200600_302600_NS11hip_rocprim14__parallel_for6kernelILj256ENS1_20__uninitialized_fill7functorINS0_10device_ptrItEEtEEmLj1EEEvT0_T1_SA_
	.globl	_ZN6thrust23THRUST_200600_302600_NS11hip_rocprim14__parallel_for6kernelILj256ENS1_20__uninitialized_fill7functorINS0_10device_ptrItEEtEEmLj1EEEvT0_T1_SA_
	.p2align	8
	.type	_ZN6thrust23THRUST_200600_302600_NS11hip_rocprim14__parallel_for6kernelILj256ENS1_20__uninitialized_fill7functorINS0_10device_ptrItEEtEEmLj1EEEvT0_T1_SA_,@function
_ZN6thrust23THRUST_200600_302600_NS11hip_rocprim14__parallel_for6kernelILj256ENS1_20__uninitialized_fill7functorINS0_10device_ptrItEEtEEmLj1EEEvT0_T1_SA_: ; @_ZN6thrust23THRUST_200600_302600_NS11hip_rocprim14__parallel_for6kernelILj256ENS1_20__uninitialized_fill7functorINS0_10device_ptrItEEtEEmLj1EEEvT0_T1_SA_
; %bb.0:
	s_load_dwordx4 s[12:15], s[4:5], 0x10
	s_load_dwordx2 s[0:1], s[4:5], 0x0
	s_load_dword s8, s[4:5], 0x8
	s_lshl_b32 s2, s6, 8
	v_mov_b32_e32 v1, 0xff
	s_waitcnt lgkmcnt(0)
	s_add_u32 s2, s14, s2
	s_addc_u32 s3, s15, 0
	s_sub_u32 s4, s12, s2
	v_mov_b32_e32 v2, 0
	s_subb_u32 s5, s13, s3
	v_cmp_gt_u64_e32 vcc, s[4:5], v[1:2]
	s_mov_b64 s[6:7], -1
	s_cbranch_vccz .LBB17_3
; %bb.1:
	s_andn2_b64 vcc, exec, s[6:7]
	s_cbranch_vccz .LBB17_6
.LBB17_2:
	s_endpgm
.LBB17_3:
	v_cmp_gt_u32_e32 vcc, s4, v0
	s_and_saveexec_b64 s[4:5], vcc
	s_cbranch_execz .LBB17_5
; %bb.4:
	s_lshl_b64 s[6:7], s[2:3], 1
	s_add_u32 s6, s0, s6
	s_addc_u32 s7, s1, s7
	v_lshlrev_b32_e32 v1, 1, v0
	v_mov_b32_e32 v2, s7
	v_add_co_u32_e32 v1, vcc, s6, v1
	v_addc_co_u32_e32 v2, vcc, 0, v2, vcc
	v_mov_b32_e32 v3, s8
	flat_store_short v[1:2], v3
.LBB17_5:
	s_or_b64 exec, exec, s[4:5]
	s_cbranch_execnz .LBB17_2
.LBB17_6:
	s_lshl_b64 s[2:3], s[2:3], 1
	s_add_u32 s0, s0, s2
	s_addc_u32 s1, s1, s3
	v_lshlrev_b32_e32 v0, 1, v0
	v_mov_b32_e32 v1, s1
	v_add_co_u32_e32 v0, vcc, s0, v0
	v_addc_co_u32_e32 v1, vcc, 0, v1, vcc
	v_mov_b32_e32 v2, s8
	flat_store_short v[0:1], v2
	s_endpgm
	.section	.rodata,"a",@progbits
	.p2align	6, 0x0
	.amdhsa_kernel _ZN6thrust23THRUST_200600_302600_NS11hip_rocprim14__parallel_for6kernelILj256ENS1_20__uninitialized_fill7functorINS0_10device_ptrItEEtEEmLj1EEEvT0_T1_SA_
		.amdhsa_group_segment_fixed_size 0
		.amdhsa_private_segment_fixed_size 0
		.amdhsa_kernarg_size 32
		.amdhsa_user_sgpr_count 6
		.amdhsa_user_sgpr_private_segment_buffer 1
		.amdhsa_user_sgpr_dispatch_ptr 0
		.amdhsa_user_sgpr_queue_ptr 0
		.amdhsa_user_sgpr_kernarg_segment_ptr 1
		.amdhsa_user_sgpr_dispatch_id 0
		.amdhsa_user_sgpr_flat_scratch_init 0
		.amdhsa_user_sgpr_private_segment_size 0
		.amdhsa_uses_dynamic_stack 0
		.amdhsa_system_sgpr_private_segment_wavefront_offset 0
		.amdhsa_system_sgpr_workgroup_id_x 1
		.amdhsa_system_sgpr_workgroup_id_y 0
		.amdhsa_system_sgpr_workgroup_id_z 0
		.amdhsa_system_sgpr_workgroup_info 0
		.amdhsa_system_vgpr_workitem_id 0
		.amdhsa_next_free_vgpr 4
		.amdhsa_next_free_sgpr 16
		.amdhsa_reserve_vcc 1
		.amdhsa_reserve_flat_scratch 0
		.amdhsa_float_round_mode_32 0
		.amdhsa_float_round_mode_16_64 0
		.amdhsa_float_denorm_mode_32 3
		.amdhsa_float_denorm_mode_16_64 3
		.amdhsa_dx10_clamp 1
		.amdhsa_ieee_mode 1
		.amdhsa_fp16_overflow 0
		.amdhsa_exception_fp_ieee_invalid_op 0
		.amdhsa_exception_fp_denorm_src 0
		.amdhsa_exception_fp_ieee_div_zero 0
		.amdhsa_exception_fp_ieee_overflow 0
		.amdhsa_exception_fp_ieee_underflow 0
		.amdhsa_exception_fp_ieee_inexact 0
		.amdhsa_exception_int_div_zero 0
	.end_amdhsa_kernel
	.section	.text._ZN6thrust23THRUST_200600_302600_NS11hip_rocprim14__parallel_for6kernelILj256ENS1_20__uninitialized_fill7functorINS0_10device_ptrItEEtEEmLj1EEEvT0_T1_SA_,"axG",@progbits,_ZN6thrust23THRUST_200600_302600_NS11hip_rocprim14__parallel_for6kernelILj256ENS1_20__uninitialized_fill7functorINS0_10device_ptrItEEtEEmLj1EEEvT0_T1_SA_,comdat
.Lfunc_end17:
	.size	_ZN6thrust23THRUST_200600_302600_NS11hip_rocprim14__parallel_for6kernelILj256ENS1_20__uninitialized_fill7functorINS0_10device_ptrItEEtEEmLj1EEEvT0_T1_SA_, .Lfunc_end17-_ZN6thrust23THRUST_200600_302600_NS11hip_rocprim14__parallel_for6kernelILj256ENS1_20__uninitialized_fill7functorINS0_10device_ptrItEEtEEmLj1EEEvT0_T1_SA_
                                        ; -- End function
	.set _ZN6thrust23THRUST_200600_302600_NS11hip_rocprim14__parallel_for6kernelILj256ENS1_20__uninitialized_fill7functorINS0_10device_ptrItEEtEEmLj1EEEvT0_T1_SA_.num_vgpr, 4
	.set _ZN6thrust23THRUST_200600_302600_NS11hip_rocprim14__parallel_for6kernelILj256ENS1_20__uninitialized_fill7functorINS0_10device_ptrItEEtEEmLj1EEEvT0_T1_SA_.num_agpr, 0
	.set _ZN6thrust23THRUST_200600_302600_NS11hip_rocprim14__parallel_for6kernelILj256ENS1_20__uninitialized_fill7functorINS0_10device_ptrItEEtEEmLj1EEEvT0_T1_SA_.numbered_sgpr, 16
	.set _ZN6thrust23THRUST_200600_302600_NS11hip_rocprim14__parallel_for6kernelILj256ENS1_20__uninitialized_fill7functorINS0_10device_ptrItEEtEEmLj1EEEvT0_T1_SA_.num_named_barrier, 0
	.set _ZN6thrust23THRUST_200600_302600_NS11hip_rocprim14__parallel_for6kernelILj256ENS1_20__uninitialized_fill7functorINS0_10device_ptrItEEtEEmLj1EEEvT0_T1_SA_.private_seg_size, 0
	.set _ZN6thrust23THRUST_200600_302600_NS11hip_rocprim14__parallel_for6kernelILj256ENS1_20__uninitialized_fill7functorINS0_10device_ptrItEEtEEmLj1EEEvT0_T1_SA_.uses_vcc, 1
	.set _ZN6thrust23THRUST_200600_302600_NS11hip_rocprim14__parallel_for6kernelILj256ENS1_20__uninitialized_fill7functorINS0_10device_ptrItEEtEEmLj1EEEvT0_T1_SA_.uses_flat_scratch, 0
	.set _ZN6thrust23THRUST_200600_302600_NS11hip_rocprim14__parallel_for6kernelILj256ENS1_20__uninitialized_fill7functorINS0_10device_ptrItEEtEEmLj1EEEvT0_T1_SA_.has_dyn_sized_stack, 0
	.set _ZN6thrust23THRUST_200600_302600_NS11hip_rocprim14__parallel_for6kernelILj256ENS1_20__uninitialized_fill7functorINS0_10device_ptrItEEtEEmLj1EEEvT0_T1_SA_.has_recursion, 0
	.set _ZN6thrust23THRUST_200600_302600_NS11hip_rocprim14__parallel_for6kernelILj256ENS1_20__uninitialized_fill7functorINS0_10device_ptrItEEtEEmLj1EEEvT0_T1_SA_.has_indirect_call, 0
	.section	.AMDGPU.csdata,"",@progbits
; Kernel info:
; codeLenInByte = 188
; TotalNumSgprs: 20
; NumVgprs: 4
; ScratchSize: 0
; MemoryBound: 0
; FloatMode: 240
; IeeeMode: 1
; LDSByteSize: 0 bytes/workgroup (compile time only)
; SGPRBlocks: 2
; VGPRBlocks: 0
; NumSGPRsForWavesPerEU: 20
; NumVGPRsForWavesPerEU: 4
; Occupancy: 10
; WaveLimiterHint : 0
; COMPUTE_PGM_RSRC2:SCRATCH_EN: 0
; COMPUTE_PGM_RSRC2:USER_SGPR: 6
; COMPUTE_PGM_RSRC2:TRAP_HANDLER: 0
; COMPUTE_PGM_RSRC2:TGID_X_EN: 1
; COMPUTE_PGM_RSRC2:TGID_Y_EN: 0
; COMPUTE_PGM_RSRC2:TGID_Z_EN: 0
; COMPUTE_PGM_RSRC2:TIDIG_COMP_CNT: 0
	.section	.text._ZN6thrust23THRUST_200600_302600_NS11hip_rocprim14__parallel_for6kernelILj256ENS1_10for_each_fINS0_6detail15normal_iteratorINS0_10device_ptrItEEEENS5_16wrapped_functionI21mark_present_for_eachItEvEEEElLj1EEEvT0_T1_SG_,"axG",@progbits,_ZN6thrust23THRUST_200600_302600_NS11hip_rocprim14__parallel_for6kernelILj256ENS1_10for_each_fINS0_6detail15normal_iteratorINS0_10device_ptrItEEEENS5_16wrapped_functionI21mark_present_for_eachItEvEEEElLj1EEEvT0_T1_SG_,comdat
	.protected	_ZN6thrust23THRUST_200600_302600_NS11hip_rocprim14__parallel_for6kernelILj256ENS1_10for_each_fINS0_6detail15normal_iteratorINS0_10device_ptrItEEEENS5_16wrapped_functionI21mark_present_for_eachItEvEEEElLj1EEEvT0_T1_SG_ ; -- Begin function _ZN6thrust23THRUST_200600_302600_NS11hip_rocprim14__parallel_for6kernelILj256ENS1_10for_each_fINS0_6detail15normal_iteratorINS0_10device_ptrItEEEENS5_16wrapped_functionI21mark_present_for_eachItEvEEEElLj1EEEvT0_T1_SG_
	.globl	_ZN6thrust23THRUST_200600_302600_NS11hip_rocprim14__parallel_for6kernelILj256ENS1_10for_each_fINS0_6detail15normal_iteratorINS0_10device_ptrItEEEENS5_16wrapped_functionI21mark_present_for_eachItEvEEEElLj1EEEvT0_T1_SG_
	.p2align	8
	.type	_ZN6thrust23THRUST_200600_302600_NS11hip_rocprim14__parallel_for6kernelILj256ENS1_10for_each_fINS0_6detail15normal_iteratorINS0_10device_ptrItEEEENS5_16wrapped_functionI21mark_present_for_eachItEvEEEElLj1EEEvT0_T1_SG_,@function
_ZN6thrust23THRUST_200600_302600_NS11hip_rocprim14__parallel_for6kernelILj256ENS1_10for_each_fINS0_6detail15normal_iteratorINS0_10device_ptrItEEEENS5_16wrapped_functionI21mark_present_for_eachItEvEEEElLj1EEEvT0_T1_SG_: ; @_ZN6thrust23THRUST_200600_302600_NS11hip_rocprim14__parallel_for6kernelILj256ENS1_10for_each_fINS0_6detail15normal_iteratorINS0_10device_ptrItEEEENS5_16wrapped_functionI21mark_present_for_eachItEvEEEElLj1EEEvT0_T1_SG_
; %bb.0:
	s_load_dwordx8 s[8:15], s[4:5], 0x0
	s_lshl_b32 s0, s6, 8
	v_mov_b32_e32 v1, 0x100
	v_mov_b32_e32 v2, 0
	s_waitcnt lgkmcnt(0)
	s_add_u32 s2, s14, s0
	s_addc_u32 s3, s15, 0
	s_sub_u32 s0, s12, s2
	s_subb_u32 s1, s13, s3
	v_cmp_lt_i64_e32 vcc, s[0:1], v[1:2]
	s_and_b64 s[4:5], vcc, exec
	s_cselect_b32 s0, s0, 0x100
	s_cmpk_eq_i32 s0, 0x100
	s_cbranch_scc1 .LBB18_4
; %bb.1:
	v_cmp_gt_u32_e32 vcc, s0, v0
	s_mov_b64 s[4:5], 0
	s_mov_b64 s[0:1], 0
                                        ; implicit-def: $vgpr1_vgpr2
	s_and_saveexec_b64 s[6:7], vcc
; %bb.2:
	s_lshl_b64 s[12:13], s[2:3], 1
	s_add_u32 s12, s8, s12
	s_addc_u32 s13, s9, s13
	v_lshlrev_b32_e32 v1, 1, v0
	v_mov_b32_e32 v2, s13
	v_add_co_u32_e32 v1, vcc, s12, v1
	s_mov_b64 s[0:1], exec
	v_addc_co_u32_e32 v2, vcc, 0, v2, vcc
; %bb.3:
	s_or_b64 exec, exec, s[6:7]
	s_and_b64 vcc, exec, s[4:5]
	s_cbranch_vccnz .LBB18_5
	s_branch .LBB18_6
.LBB18_4:
	s_mov_b64 s[0:1], 0
                                        ; implicit-def: $vgpr1_vgpr2
	s_cbranch_execz .LBB18_6
.LBB18_5:
	s_lshl_b64 s[2:3], s[2:3], 1
	s_add_u32 s2, s8, s2
	s_addc_u32 s3, s9, s3
	v_lshlrev_b32_e32 v0, 1, v0
	v_mov_b32_e32 v2, s3
	v_add_co_u32_e32 v1, vcc, s2, v0
	v_addc_co_u32_e32 v2, vcc, 0, v2, vcc
	s_or_b64 s[0:1], s[0:1], exec
.LBB18_6:
	s_and_saveexec_b64 s[2:3], s[0:1]
	s_cbranch_execnz .LBB18_8
; %bb.7:
	s_endpgm
.LBB18_8:
	flat_load_ushort v0, v[1:2]
	v_mov_b32_e32 v1, 1
	s_waitcnt vmcnt(0) lgkmcnt(0)
	v_lshlrev_b32_e32 v0, 1, v0
	global_store_short v0, v1, s[10:11]
	s_endpgm
	.section	.rodata,"a",@progbits
	.p2align	6, 0x0
	.amdhsa_kernel _ZN6thrust23THRUST_200600_302600_NS11hip_rocprim14__parallel_for6kernelILj256ENS1_10for_each_fINS0_6detail15normal_iteratorINS0_10device_ptrItEEEENS5_16wrapped_functionI21mark_present_for_eachItEvEEEElLj1EEEvT0_T1_SG_
		.amdhsa_group_segment_fixed_size 0
		.amdhsa_private_segment_fixed_size 0
		.amdhsa_kernarg_size 32
		.amdhsa_user_sgpr_count 6
		.amdhsa_user_sgpr_private_segment_buffer 1
		.amdhsa_user_sgpr_dispatch_ptr 0
		.amdhsa_user_sgpr_queue_ptr 0
		.amdhsa_user_sgpr_kernarg_segment_ptr 1
		.amdhsa_user_sgpr_dispatch_id 0
		.amdhsa_user_sgpr_flat_scratch_init 0
		.amdhsa_user_sgpr_private_segment_size 0
		.amdhsa_uses_dynamic_stack 0
		.amdhsa_system_sgpr_private_segment_wavefront_offset 0
		.amdhsa_system_sgpr_workgroup_id_x 1
		.amdhsa_system_sgpr_workgroup_id_y 0
		.amdhsa_system_sgpr_workgroup_id_z 0
		.amdhsa_system_sgpr_workgroup_info 0
		.amdhsa_system_vgpr_workitem_id 0
		.amdhsa_next_free_vgpr 3
		.amdhsa_next_free_sgpr 16
		.amdhsa_reserve_vcc 1
		.amdhsa_reserve_flat_scratch 0
		.amdhsa_float_round_mode_32 0
		.amdhsa_float_round_mode_16_64 0
		.amdhsa_float_denorm_mode_32 3
		.amdhsa_float_denorm_mode_16_64 3
		.amdhsa_dx10_clamp 1
		.amdhsa_ieee_mode 1
		.amdhsa_fp16_overflow 0
		.amdhsa_exception_fp_ieee_invalid_op 0
		.amdhsa_exception_fp_denorm_src 0
		.amdhsa_exception_fp_ieee_div_zero 0
		.amdhsa_exception_fp_ieee_overflow 0
		.amdhsa_exception_fp_ieee_underflow 0
		.amdhsa_exception_fp_ieee_inexact 0
		.amdhsa_exception_int_div_zero 0
	.end_amdhsa_kernel
	.section	.text._ZN6thrust23THRUST_200600_302600_NS11hip_rocprim14__parallel_for6kernelILj256ENS1_10for_each_fINS0_6detail15normal_iteratorINS0_10device_ptrItEEEENS5_16wrapped_functionI21mark_present_for_eachItEvEEEElLj1EEEvT0_T1_SG_,"axG",@progbits,_ZN6thrust23THRUST_200600_302600_NS11hip_rocprim14__parallel_for6kernelILj256ENS1_10for_each_fINS0_6detail15normal_iteratorINS0_10device_ptrItEEEENS5_16wrapped_functionI21mark_present_for_eachItEvEEEElLj1EEEvT0_T1_SG_,comdat
.Lfunc_end18:
	.size	_ZN6thrust23THRUST_200600_302600_NS11hip_rocprim14__parallel_for6kernelILj256ENS1_10for_each_fINS0_6detail15normal_iteratorINS0_10device_ptrItEEEENS5_16wrapped_functionI21mark_present_for_eachItEvEEEElLj1EEEvT0_T1_SG_, .Lfunc_end18-_ZN6thrust23THRUST_200600_302600_NS11hip_rocprim14__parallel_for6kernelILj256ENS1_10for_each_fINS0_6detail15normal_iteratorINS0_10device_ptrItEEEENS5_16wrapped_functionI21mark_present_for_eachItEvEEEElLj1EEEvT0_T1_SG_
                                        ; -- End function
	.set _ZN6thrust23THRUST_200600_302600_NS11hip_rocprim14__parallel_for6kernelILj256ENS1_10for_each_fINS0_6detail15normal_iteratorINS0_10device_ptrItEEEENS5_16wrapped_functionI21mark_present_for_eachItEvEEEElLj1EEEvT0_T1_SG_.num_vgpr, 3
	.set _ZN6thrust23THRUST_200600_302600_NS11hip_rocprim14__parallel_for6kernelILj256ENS1_10for_each_fINS0_6detail15normal_iteratorINS0_10device_ptrItEEEENS5_16wrapped_functionI21mark_present_for_eachItEvEEEElLj1EEEvT0_T1_SG_.num_agpr, 0
	.set _ZN6thrust23THRUST_200600_302600_NS11hip_rocprim14__parallel_for6kernelILj256ENS1_10for_each_fINS0_6detail15normal_iteratorINS0_10device_ptrItEEEENS5_16wrapped_functionI21mark_present_for_eachItEvEEEElLj1EEEvT0_T1_SG_.numbered_sgpr, 16
	.set _ZN6thrust23THRUST_200600_302600_NS11hip_rocprim14__parallel_for6kernelILj256ENS1_10for_each_fINS0_6detail15normal_iteratorINS0_10device_ptrItEEEENS5_16wrapped_functionI21mark_present_for_eachItEvEEEElLj1EEEvT0_T1_SG_.num_named_barrier, 0
	.set _ZN6thrust23THRUST_200600_302600_NS11hip_rocprim14__parallel_for6kernelILj256ENS1_10for_each_fINS0_6detail15normal_iteratorINS0_10device_ptrItEEEENS5_16wrapped_functionI21mark_present_for_eachItEvEEEElLj1EEEvT0_T1_SG_.private_seg_size, 0
	.set _ZN6thrust23THRUST_200600_302600_NS11hip_rocprim14__parallel_for6kernelILj256ENS1_10for_each_fINS0_6detail15normal_iteratorINS0_10device_ptrItEEEENS5_16wrapped_functionI21mark_present_for_eachItEvEEEElLj1EEEvT0_T1_SG_.uses_vcc, 1
	.set _ZN6thrust23THRUST_200600_302600_NS11hip_rocprim14__parallel_for6kernelILj256ENS1_10for_each_fINS0_6detail15normal_iteratorINS0_10device_ptrItEEEENS5_16wrapped_functionI21mark_present_for_eachItEvEEEElLj1EEEvT0_T1_SG_.uses_flat_scratch, 0
	.set _ZN6thrust23THRUST_200600_302600_NS11hip_rocprim14__parallel_for6kernelILj256ENS1_10for_each_fINS0_6detail15normal_iteratorINS0_10device_ptrItEEEENS5_16wrapped_functionI21mark_present_for_eachItEvEEEElLj1EEEvT0_T1_SG_.has_dyn_sized_stack, 0
	.set _ZN6thrust23THRUST_200600_302600_NS11hip_rocprim14__parallel_for6kernelILj256ENS1_10for_each_fINS0_6detail15normal_iteratorINS0_10device_ptrItEEEENS5_16wrapped_functionI21mark_present_for_eachItEvEEEElLj1EEEvT0_T1_SG_.has_recursion, 0
	.set _ZN6thrust23THRUST_200600_302600_NS11hip_rocprim14__parallel_for6kernelILj256ENS1_10for_each_fINS0_6detail15normal_iteratorINS0_10device_ptrItEEEENS5_16wrapped_functionI21mark_present_for_eachItEvEEEElLj1EEEvT0_T1_SG_.has_indirect_call, 0
	.section	.AMDGPU.csdata,"",@progbits
; Kernel info:
; codeLenInByte = 216
; TotalNumSgprs: 20
; NumVgprs: 3
; ScratchSize: 0
; MemoryBound: 0
; FloatMode: 240
; IeeeMode: 1
; LDSByteSize: 0 bytes/workgroup (compile time only)
; SGPRBlocks: 2
; VGPRBlocks: 0
; NumSGPRsForWavesPerEU: 20
; NumVGPRsForWavesPerEU: 3
; Occupancy: 10
; WaveLimiterHint : 1
; COMPUTE_PGM_RSRC2:SCRATCH_EN: 0
; COMPUTE_PGM_RSRC2:USER_SGPR: 6
; COMPUTE_PGM_RSRC2:TRAP_HANDLER: 0
; COMPUTE_PGM_RSRC2:TGID_X_EN: 1
; COMPUTE_PGM_RSRC2:TGID_Y_EN: 0
; COMPUTE_PGM_RSRC2:TGID_Z_EN: 0
; COMPUTE_PGM_RSRC2:TIDIG_COMP_CNT: 0
	.section	.text._ZN6thrust23THRUST_200600_302600_NS11hip_rocprim14__parallel_for6kernelILj256ENS1_20__uninitialized_fill7functorINS0_10device_ptrIxEExEEmLj1EEEvT0_T1_SA_,"axG",@progbits,_ZN6thrust23THRUST_200600_302600_NS11hip_rocprim14__parallel_for6kernelILj256ENS1_20__uninitialized_fill7functorINS0_10device_ptrIxEExEEmLj1EEEvT0_T1_SA_,comdat
	.protected	_ZN6thrust23THRUST_200600_302600_NS11hip_rocprim14__parallel_for6kernelILj256ENS1_20__uninitialized_fill7functorINS0_10device_ptrIxEExEEmLj1EEEvT0_T1_SA_ ; -- Begin function _ZN6thrust23THRUST_200600_302600_NS11hip_rocprim14__parallel_for6kernelILj256ENS1_20__uninitialized_fill7functorINS0_10device_ptrIxEExEEmLj1EEEvT0_T1_SA_
	.globl	_ZN6thrust23THRUST_200600_302600_NS11hip_rocprim14__parallel_for6kernelILj256ENS1_20__uninitialized_fill7functorINS0_10device_ptrIxEExEEmLj1EEEvT0_T1_SA_
	.p2align	8
	.type	_ZN6thrust23THRUST_200600_302600_NS11hip_rocprim14__parallel_for6kernelILj256ENS1_20__uninitialized_fill7functorINS0_10device_ptrIxEExEEmLj1EEEvT0_T1_SA_,@function
_ZN6thrust23THRUST_200600_302600_NS11hip_rocprim14__parallel_for6kernelILj256ENS1_20__uninitialized_fill7functorINS0_10device_ptrIxEExEEmLj1EEEvT0_T1_SA_: ; @_ZN6thrust23THRUST_200600_302600_NS11hip_rocprim14__parallel_for6kernelILj256ENS1_20__uninitialized_fill7functorINS0_10device_ptrIxEExEEmLj1EEEvT0_T1_SA_
; %bb.0:
	s_load_dwordx8 s[8:15], s[4:5], 0x0
	s_lshl_b32 s0, s6, 8
	v_mov_b32_e32 v1, 0xff
	v_mov_b32_e32 v2, 0
	s_mov_b64 s[4:5], -1
	s_waitcnt lgkmcnt(0)
	s_add_u32 s0, s14, s0
	s_addc_u32 s1, s15, 0
	s_sub_u32 s2, s12, s0
	s_subb_u32 s3, s13, s1
	v_cmp_gt_u64_e32 vcc, s[2:3], v[1:2]
	s_cbranch_vccz .LBB19_3
; %bb.1:
	s_andn2_b64 vcc, exec, s[4:5]
	s_cbranch_vccz .LBB19_6
.LBB19_2:
	s_endpgm
.LBB19_3:
	v_cmp_gt_u32_e32 vcc, s2, v0
	s_and_saveexec_b64 s[2:3], vcc
	s_cbranch_execz .LBB19_5
; %bb.4:
	s_lshl_b64 s[4:5], s[0:1], 3
	s_add_u32 s4, s8, s4
	s_addc_u32 s5, s9, s5
	v_lshlrev_b32_e32 v1, 3, v0
	v_mov_b32_e32 v2, s5
	v_add_co_u32_e32 v1, vcc, s4, v1
	v_mov_b32_e32 v3, s10
	v_addc_co_u32_e32 v2, vcc, 0, v2, vcc
	v_mov_b32_e32 v4, s11
	flat_store_dwordx2 v[1:2], v[3:4]
.LBB19_5:
	s_or_b64 exec, exec, s[2:3]
	s_cbranch_execnz .LBB19_2
.LBB19_6:
	s_lshl_b64 s[0:1], s[0:1], 3
	s_add_u32 s0, s8, s0
	s_addc_u32 s1, s9, s1
	v_lshlrev_b32_e32 v0, 3, v0
	v_mov_b32_e32 v1, s1
	v_add_co_u32_e32 v0, vcc, s0, v0
	v_mov_b32_e32 v2, s10
	v_addc_co_u32_e32 v1, vcc, 0, v1, vcc
	v_mov_b32_e32 v3, s11
	flat_store_dwordx2 v[0:1], v[2:3]
	s_endpgm
	.section	.rodata,"a",@progbits
	.p2align	6, 0x0
	.amdhsa_kernel _ZN6thrust23THRUST_200600_302600_NS11hip_rocprim14__parallel_for6kernelILj256ENS1_20__uninitialized_fill7functorINS0_10device_ptrIxEExEEmLj1EEEvT0_T1_SA_
		.amdhsa_group_segment_fixed_size 0
		.amdhsa_private_segment_fixed_size 0
		.amdhsa_kernarg_size 32
		.amdhsa_user_sgpr_count 6
		.amdhsa_user_sgpr_private_segment_buffer 1
		.amdhsa_user_sgpr_dispatch_ptr 0
		.amdhsa_user_sgpr_queue_ptr 0
		.amdhsa_user_sgpr_kernarg_segment_ptr 1
		.amdhsa_user_sgpr_dispatch_id 0
		.amdhsa_user_sgpr_flat_scratch_init 0
		.amdhsa_user_sgpr_private_segment_size 0
		.amdhsa_uses_dynamic_stack 0
		.amdhsa_system_sgpr_private_segment_wavefront_offset 0
		.amdhsa_system_sgpr_workgroup_id_x 1
		.amdhsa_system_sgpr_workgroup_id_y 0
		.amdhsa_system_sgpr_workgroup_id_z 0
		.amdhsa_system_sgpr_workgroup_info 0
		.amdhsa_system_vgpr_workitem_id 0
		.amdhsa_next_free_vgpr 5
		.amdhsa_next_free_sgpr 16
		.amdhsa_reserve_vcc 1
		.amdhsa_reserve_flat_scratch 0
		.amdhsa_float_round_mode_32 0
		.amdhsa_float_round_mode_16_64 0
		.amdhsa_float_denorm_mode_32 3
		.amdhsa_float_denorm_mode_16_64 3
		.amdhsa_dx10_clamp 1
		.amdhsa_ieee_mode 1
		.amdhsa_fp16_overflow 0
		.amdhsa_exception_fp_ieee_invalid_op 0
		.amdhsa_exception_fp_denorm_src 0
		.amdhsa_exception_fp_ieee_div_zero 0
		.amdhsa_exception_fp_ieee_overflow 0
		.amdhsa_exception_fp_ieee_underflow 0
		.amdhsa_exception_fp_ieee_inexact 0
		.amdhsa_exception_int_div_zero 0
	.end_amdhsa_kernel
	.section	.text._ZN6thrust23THRUST_200600_302600_NS11hip_rocprim14__parallel_for6kernelILj256ENS1_20__uninitialized_fill7functorINS0_10device_ptrIxEExEEmLj1EEEvT0_T1_SA_,"axG",@progbits,_ZN6thrust23THRUST_200600_302600_NS11hip_rocprim14__parallel_for6kernelILj256ENS1_20__uninitialized_fill7functorINS0_10device_ptrIxEExEEmLj1EEEvT0_T1_SA_,comdat
.Lfunc_end19:
	.size	_ZN6thrust23THRUST_200600_302600_NS11hip_rocprim14__parallel_for6kernelILj256ENS1_20__uninitialized_fill7functorINS0_10device_ptrIxEExEEmLj1EEEvT0_T1_SA_, .Lfunc_end19-_ZN6thrust23THRUST_200600_302600_NS11hip_rocprim14__parallel_for6kernelILj256ENS1_20__uninitialized_fill7functorINS0_10device_ptrIxEExEEmLj1EEEvT0_T1_SA_
                                        ; -- End function
	.set _ZN6thrust23THRUST_200600_302600_NS11hip_rocprim14__parallel_for6kernelILj256ENS1_20__uninitialized_fill7functorINS0_10device_ptrIxEExEEmLj1EEEvT0_T1_SA_.num_vgpr, 5
	.set _ZN6thrust23THRUST_200600_302600_NS11hip_rocprim14__parallel_for6kernelILj256ENS1_20__uninitialized_fill7functorINS0_10device_ptrIxEExEEmLj1EEEvT0_T1_SA_.num_agpr, 0
	.set _ZN6thrust23THRUST_200600_302600_NS11hip_rocprim14__parallel_for6kernelILj256ENS1_20__uninitialized_fill7functorINS0_10device_ptrIxEExEEmLj1EEEvT0_T1_SA_.numbered_sgpr, 16
	.set _ZN6thrust23THRUST_200600_302600_NS11hip_rocprim14__parallel_for6kernelILj256ENS1_20__uninitialized_fill7functorINS0_10device_ptrIxEExEEmLj1EEEvT0_T1_SA_.num_named_barrier, 0
	.set _ZN6thrust23THRUST_200600_302600_NS11hip_rocprim14__parallel_for6kernelILj256ENS1_20__uninitialized_fill7functorINS0_10device_ptrIxEExEEmLj1EEEvT0_T1_SA_.private_seg_size, 0
	.set _ZN6thrust23THRUST_200600_302600_NS11hip_rocprim14__parallel_for6kernelILj256ENS1_20__uninitialized_fill7functorINS0_10device_ptrIxEExEEmLj1EEEvT0_T1_SA_.uses_vcc, 1
	.set _ZN6thrust23THRUST_200600_302600_NS11hip_rocprim14__parallel_for6kernelILj256ENS1_20__uninitialized_fill7functorINS0_10device_ptrIxEExEEmLj1EEEvT0_T1_SA_.uses_flat_scratch, 0
	.set _ZN6thrust23THRUST_200600_302600_NS11hip_rocprim14__parallel_for6kernelILj256ENS1_20__uninitialized_fill7functorINS0_10device_ptrIxEExEEmLj1EEEvT0_T1_SA_.has_dyn_sized_stack, 0
	.set _ZN6thrust23THRUST_200600_302600_NS11hip_rocprim14__parallel_for6kernelILj256ENS1_20__uninitialized_fill7functorINS0_10device_ptrIxEExEEmLj1EEEvT0_T1_SA_.has_recursion, 0
	.set _ZN6thrust23THRUST_200600_302600_NS11hip_rocprim14__parallel_for6kernelILj256ENS1_20__uninitialized_fill7functorINS0_10device_ptrIxEExEEmLj1EEEvT0_T1_SA_.has_indirect_call, 0
	.section	.AMDGPU.csdata,"",@progbits
; Kernel info:
; codeLenInByte = 180
; TotalNumSgprs: 20
; NumVgprs: 5
; ScratchSize: 0
; MemoryBound: 0
; FloatMode: 240
; IeeeMode: 1
; LDSByteSize: 0 bytes/workgroup (compile time only)
; SGPRBlocks: 2
; VGPRBlocks: 1
; NumSGPRsForWavesPerEU: 20
; NumVGPRsForWavesPerEU: 5
; Occupancy: 10
; WaveLimiterHint : 0
; COMPUTE_PGM_RSRC2:SCRATCH_EN: 0
; COMPUTE_PGM_RSRC2:USER_SGPR: 6
; COMPUTE_PGM_RSRC2:TRAP_HANDLER: 0
; COMPUTE_PGM_RSRC2:TGID_X_EN: 1
; COMPUTE_PGM_RSRC2:TGID_Y_EN: 0
; COMPUTE_PGM_RSRC2:TGID_Z_EN: 0
; COMPUTE_PGM_RSRC2:TIDIG_COMP_CNT: 0
	.section	.text._ZN6thrust23THRUST_200600_302600_NS11hip_rocprim14__parallel_for6kernelILj256ENS1_10for_each_fINS0_6detail15normal_iteratorINS0_10device_ptrIxEEEENS5_16wrapped_functionI21mark_present_for_eachIxEvEEEElLj1EEEvT0_T1_SG_,"axG",@progbits,_ZN6thrust23THRUST_200600_302600_NS11hip_rocprim14__parallel_for6kernelILj256ENS1_10for_each_fINS0_6detail15normal_iteratorINS0_10device_ptrIxEEEENS5_16wrapped_functionI21mark_present_for_eachIxEvEEEElLj1EEEvT0_T1_SG_,comdat
	.protected	_ZN6thrust23THRUST_200600_302600_NS11hip_rocprim14__parallel_for6kernelILj256ENS1_10for_each_fINS0_6detail15normal_iteratorINS0_10device_ptrIxEEEENS5_16wrapped_functionI21mark_present_for_eachIxEvEEEElLj1EEEvT0_T1_SG_ ; -- Begin function _ZN6thrust23THRUST_200600_302600_NS11hip_rocprim14__parallel_for6kernelILj256ENS1_10for_each_fINS0_6detail15normal_iteratorINS0_10device_ptrIxEEEENS5_16wrapped_functionI21mark_present_for_eachIxEvEEEElLj1EEEvT0_T1_SG_
	.globl	_ZN6thrust23THRUST_200600_302600_NS11hip_rocprim14__parallel_for6kernelILj256ENS1_10for_each_fINS0_6detail15normal_iteratorINS0_10device_ptrIxEEEENS5_16wrapped_functionI21mark_present_for_eachIxEvEEEElLj1EEEvT0_T1_SG_
	.p2align	8
	.type	_ZN6thrust23THRUST_200600_302600_NS11hip_rocprim14__parallel_for6kernelILj256ENS1_10for_each_fINS0_6detail15normal_iteratorINS0_10device_ptrIxEEEENS5_16wrapped_functionI21mark_present_for_eachIxEvEEEElLj1EEEvT0_T1_SG_,@function
_ZN6thrust23THRUST_200600_302600_NS11hip_rocprim14__parallel_for6kernelILj256ENS1_10for_each_fINS0_6detail15normal_iteratorINS0_10device_ptrIxEEEENS5_16wrapped_functionI21mark_present_for_eachIxEvEEEElLj1EEEvT0_T1_SG_: ; @_ZN6thrust23THRUST_200600_302600_NS11hip_rocprim14__parallel_for6kernelILj256ENS1_10for_each_fINS0_6detail15normal_iteratorINS0_10device_ptrIxEEEENS5_16wrapped_functionI21mark_present_for_eachIxEvEEEElLj1EEEvT0_T1_SG_
; %bb.0:
	s_load_dwordx8 s[8:15], s[4:5], 0x0
	s_lshl_b32 s0, s6, 8
	v_mov_b32_e32 v1, 0x100
	v_mov_b32_e32 v2, 0
	s_waitcnt lgkmcnt(0)
	s_add_u32 s2, s14, s0
	s_addc_u32 s3, s15, 0
	s_sub_u32 s0, s12, s2
	s_subb_u32 s1, s13, s3
	v_cmp_lt_i64_e32 vcc, s[0:1], v[1:2]
	s_and_b64 s[4:5], vcc, exec
	s_cselect_b32 s0, s0, 0x100
	s_cmpk_eq_i32 s0, 0x100
	s_cbranch_scc1 .LBB20_4
; %bb.1:
	v_cmp_gt_u32_e32 vcc, s0, v0
	s_mov_b64 s[4:5], 0
	s_mov_b64 s[0:1], 0
                                        ; implicit-def: $vgpr1_vgpr2
	s_and_saveexec_b64 s[6:7], vcc
; %bb.2:
	s_lshl_b64 s[12:13], s[2:3], 3
	s_add_u32 s12, s8, s12
	s_addc_u32 s13, s9, s13
	v_lshlrev_b32_e32 v1, 3, v0
	v_mov_b32_e32 v2, s13
	v_add_co_u32_e32 v1, vcc, s12, v1
	s_mov_b64 s[0:1], exec
	v_addc_co_u32_e32 v2, vcc, 0, v2, vcc
; %bb.3:
	s_or_b64 exec, exec, s[6:7]
	s_and_b64 vcc, exec, s[4:5]
	s_cbranch_vccnz .LBB20_5
	s_branch .LBB20_6
.LBB20_4:
	s_mov_b64 s[0:1], 0
                                        ; implicit-def: $vgpr1_vgpr2
	s_cbranch_execz .LBB20_6
.LBB20_5:
	s_lshl_b64 s[2:3], s[2:3], 3
	s_add_u32 s2, s8, s2
	s_addc_u32 s3, s9, s3
	v_lshlrev_b32_e32 v0, 3, v0
	v_mov_b32_e32 v2, s3
	v_add_co_u32_e32 v1, vcc, s2, v0
	v_addc_co_u32_e32 v2, vcc, 0, v2, vcc
	s_or_b64 s[0:1], s[0:1], exec
.LBB20_6:
	s_and_saveexec_b64 s[2:3], s[0:1]
	s_cbranch_execnz .LBB20_8
; %bb.7:
	s_endpgm
.LBB20_8:
	flat_load_dword v1, v[1:2]
	v_mov_b32_e32 v0, 0
	v_mov_b32_e32 v6, s11
	;; [unrolled: 1-line block ×3, first 2 shown]
	s_waitcnt vmcnt(0) lgkmcnt(0)
	v_ashrrev_i64 v[3:4], 29, v[0:1]
	v_add_co_u32_e32 v5, vcc, s10, v3
	v_addc_co_u32_e32 v6, vcc, v6, v4, vcc
	v_mov_b32_e32 v3, v0
	global_store_dwordx2 v[5:6], v[2:3], off
	s_endpgm
	.section	.rodata,"a",@progbits
	.p2align	6, 0x0
	.amdhsa_kernel _ZN6thrust23THRUST_200600_302600_NS11hip_rocprim14__parallel_for6kernelILj256ENS1_10for_each_fINS0_6detail15normal_iteratorINS0_10device_ptrIxEEEENS5_16wrapped_functionI21mark_present_for_eachIxEvEEEElLj1EEEvT0_T1_SG_
		.amdhsa_group_segment_fixed_size 0
		.amdhsa_private_segment_fixed_size 0
		.amdhsa_kernarg_size 32
		.amdhsa_user_sgpr_count 6
		.amdhsa_user_sgpr_private_segment_buffer 1
		.amdhsa_user_sgpr_dispatch_ptr 0
		.amdhsa_user_sgpr_queue_ptr 0
		.amdhsa_user_sgpr_kernarg_segment_ptr 1
		.amdhsa_user_sgpr_dispatch_id 0
		.amdhsa_user_sgpr_flat_scratch_init 0
		.amdhsa_user_sgpr_private_segment_size 0
		.amdhsa_uses_dynamic_stack 0
		.amdhsa_system_sgpr_private_segment_wavefront_offset 0
		.amdhsa_system_sgpr_workgroup_id_x 1
		.amdhsa_system_sgpr_workgroup_id_y 0
		.amdhsa_system_sgpr_workgroup_id_z 0
		.amdhsa_system_sgpr_workgroup_info 0
		.amdhsa_system_vgpr_workitem_id 0
		.amdhsa_next_free_vgpr 7
		.amdhsa_next_free_sgpr 16
		.amdhsa_reserve_vcc 1
		.amdhsa_reserve_flat_scratch 0
		.amdhsa_float_round_mode_32 0
		.amdhsa_float_round_mode_16_64 0
		.amdhsa_float_denorm_mode_32 3
		.amdhsa_float_denorm_mode_16_64 3
		.amdhsa_dx10_clamp 1
		.amdhsa_ieee_mode 1
		.amdhsa_fp16_overflow 0
		.amdhsa_exception_fp_ieee_invalid_op 0
		.amdhsa_exception_fp_denorm_src 0
		.amdhsa_exception_fp_ieee_div_zero 0
		.amdhsa_exception_fp_ieee_overflow 0
		.amdhsa_exception_fp_ieee_underflow 0
		.amdhsa_exception_fp_ieee_inexact 0
		.amdhsa_exception_int_div_zero 0
	.end_amdhsa_kernel
	.section	.text._ZN6thrust23THRUST_200600_302600_NS11hip_rocprim14__parallel_for6kernelILj256ENS1_10for_each_fINS0_6detail15normal_iteratorINS0_10device_ptrIxEEEENS5_16wrapped_functionI21mark_present_for_eachIxEvEEEElLj1EEEvT0_T1_SG_,"axG",@progbits,_ZN6thrust23THRUST_200600_302600_NS11hip_rocprim14__parallel_for6kernelILj256ENS1_10for_each_fINS0_6detail15normal_iteratorINS0_10device_ptrIxEEEENS5_16wrapped_functionI21mark_present_for_eachIxEvEEEElLj1EEEvT0_T1_SG_,comdat
.Lfunc_end20:
	.size	_ZN6thrust23THRUST_200600_302600_NS11hip_rocprim14__parallel_for6kernelILj256ENS1_10for_each_fINS0_6detail15normal_iteratorINS0_10device_ptrIxEEEENS5_16wrapped_functionI21mark_present_for_eachIxEvEEEElLj1EEEvT0_T1_SG_, .Lfunc_end20-_ZN6thrust23THRUST_200600_302600_NS11hip_rocprim14__parallel_for6kernelILj256ENS1_10for_each_fINS0_6detail15normal_iteratorINS0_10device_ptrIxEEEENS5_16wrapped_functionI21mark_present_for_eachIxEvEEEElLj1EEEvT0_T1_SG_
                                        ; -- End function
	.set _ZN6thrust23THRUST_200600_302600_NS11hip_rocprim14__parallel_for6kernelILj256ENS1_10for_each_fINS0_6detail15normal_iteratorINS0_10device_ptrIxEEEENS5_16wrapped_functionI21mark_present_for_eachIxEvEEEElLj1EEEvT0_T1_SG_.num_vgpr, 7
	.set _ZN6thrust23THRUST_200600_302600_NS11hip_rocprim14__parallel_for6kernelILj256ENS1_10for_each_fINS0_6detail15normal_iteratorINS0_10device_ptrIxEEEENS5_16wrapped_functionI21mark_present_for_eachIxEvEEEElLj1EEEvT0_T1_SG_.num_agpr, 0
	.set _ZN6thrust23THRUST_200600_302600_NS11hip_rocprim14__parallel_for6kernelILj256ENS1_10for_each_fINS0_6detail15normal_iteratorINS0_10device_ptrIxEEEENS5_16wrapped_functionI21mark_present_for_eachIxEvEEEElLj1EEEvT0_T1_SG_.numbered_sgpr, 16
	.set _ZN6thrust23THRUST_200600_302600_NS11hip_rocprim14__parallel_for6kernelILj256ENS1_10for_each_fINS0_6detail15normal_iteratorINS0_10device_ptrIxEEEENS5_16wrapped_functionI21mark_present_for_eachIxEvEEEElLj1EEEvT0_T1_SG_.num_named_barrier, 0
	.set _ZN6thrust23THRUST_200600_302600_NS11hip_rocprim14__parallel_for6kernelILj256ENS1_10for_each_fINS0_6detail15normal_iteratorINS0_10device_ptrIxEEEENS5_16wrapped_functionI21mark_present_for_eachIxEvEEEElLj1EEEvT0_T1_SG_.private_seg_size, 0
	.set _ZN6thrust23THRUST_200600_302600_NS11hip_rocprim14__parallel_for6kernelILj256ENS1_10for_each_fINS0_6detail15normal_iteratorINS0_10device_ptrIxEEEENS5_16wrapped_functionI21mark_present_for_eachIxEvEEEElLj1EEEvT0_T1_SG_.uses_vcc, 1
	.set _ZN6thrust23THRUST_200600_302600_NS11hip_rocprim14__parallel_for6kernelILj256ENS1_10for_each_fINS0_6detail15normal_iteratorINS0_10device_ptrIxEEEENS5_16wrapped_functionI21mark_present_for_eachIxEvEEEElLj1EEEvT0_T1_SG_.uses_flat_scratch, 0
	.set _ZN6thrust23THRUST_200600_302600_NS11hip_rocprim14__parallel_for6kernelILj256ENS1_10for_each_fINS0_6detail15normal_iteratorINS0_10device_ptrIxEEEENS5_16wrapped_functionI21mark_present_for_eachIxEvEEEElLj1EEEvT0_T1_SG_.has_dyn_sized_stack, 0
	.set _ZN6thrust23THRUST_200600_302600_NS11hip_rocprim14__parallel_for6kernelILj256ENS1_10for_each_fINS0_6detail15normal_iteratorINS0_10device_ptrIxEEEENS5_16wrapped_functionI21mark_present_for_eachIxEvEEEElLj1EEEvT0_T1_SG_.has_recursion, 0
	.set _ZN6thrust23THRUST_200600_302600_NS11hip_rocprim14__parallel_for6kernelILj256ENS1_10for_each_fINS0_6detail15normal_iteratorINS0_10device_ptrIxEEEENS5_16wrapped_functionI21mark_present_for_eachIxEvEEEElLj1EEEvT0_T1_SG_.has_indirect_call, 0
	.section	.AMDGPU.csdata,"",@progbits
; Kernel info:
; codeLenInByte = 240
; TotalNumSgprs: 20
; NumVgprs: 7
; ScratchSize: 0
; MemoryBound: 0
; FloatMode: 240
; IeeeMode: 1
; LDSByteSize: 0 bytes/workgroup (compile time only)
; SGPRBlocks: 2
; VGPRBlocks: 1
; NumSGPRsForWavesPerEU: 20
; NumVGPRsForWavesPerEU: 7
; Occupancy: 10
; WaveLimiterHint : 1
; COMPUTE_PGM_RSRC2:SCRATCH_EN: 0
; COMPUTE_PGM_RSRC2:USER_SGPR: 6
; COMPUTE_PGM_RSRC2:TRAP_HANDLER: 0
; COMPUTE_PGM_RSRC2:TGID_X_EN: 1
; COMPUTE_PGM_RSRC2:TGID_Y_EN: 0
; COMPUTE_PGM_RSRC2:TGID_Z_EN: 0
; COMPUTE_PGM_RSRC2:TIDIG_COMP_CNT: 0
	.section	.text._ZN6thrust23THRUST_200600_302600_NS11hip_rocprim14__parallel_for6kernelILj256ENS1_10for_each_fINS0_6detail15normal_iteratorINS0_10device_ptrIiEEEENS5_16wrapped_functionI21mark_present_for_eachIiEvEEEElLj1EEEvT0_T1_SG_,"axG",@progbits,_ZN6thrust23THRUST_200600_302600_NS11hip_rocprim14__parallel_for6kernelILj256ENS1_10for_each_fINS0_6detail15normal_iteratorINS0_10device_ptrIiEEEENS5_16wrapped_functionI21mark_present_for_eachIiEvEEEElLj1EEEvT0_T1_SG_,comdat
	.protected	_ZN6thrust23THRUST_200600_302600_NS11hip_rocprim14__parallel_for6kernelILj256ENS1_10for_each_fINS0_6detail15normal_iteratorINS0_10device_ptrIiEEEENS5_16wrapped_functionI21mark_present_for_eachIiEvEEEElLj1EEEvT0_T1_SG_ ; -- Begin function _ZN6thrust23THRUST_200600_302600_NS11hip_rocprim14__parallel_for6kernelILj256ENS1_10for_each_fINS0_6detail15normal_iteratorINS0_10device_ptrIiEEEENS5_16wrapped_functionI21mark_present_for_eachIiEvEEEElLj1EEEvT0_T1_SG_
	.globl	_ZN6thrust23THRUST_200600_302600_NS11hip_rocprim14__parallel_for6kernelILj256ENS1_10for_each_fINS0_6detail15normal_iteratorINS0_10device_ptrIiEEEENS5_16wrapped_functionI21mark_present_for_eachIiEvEEEElLj1EEEvT0_T1_SG_
	.p2align	8
	.type	_ZN6thrust23THRUST_200600_302600_NS11hip_rocprim14__parallel_for6kernelILj256ENS1_10for_each_fINS0_6detail15normal_iteratorINS0_10device_ptrIiEEEENS5_16wrapped_functionI21mark_present_for_eachIiEvEEEElLj1EEEvT0_T1_SG_,@function
_ZN6thrust23THRUST_200600_302600_NS11hip_rocprim14__parallel_for6kernelILj256ENS1_10for_each_fINS0_6detail15normal_iteratorINS0_10device_ptrIiEEEENS5_16wrapped_functionI21mark_present_for_eachIiEvEEEElLj1EEEvT0_T1_SG_: ; @_ZN6thrust23THRUST_200600_302600_NS11hip_rocprim14__parallel_for6kernelILj256ENS1_10for_each_fINS0_6detail15normal_iteratorINS0_10device_ptrIiEEEENS5_16wrapped_functionI21mark_present_for_eachIiEvEEEElLj1EEEvT0_T1_SG_
; %bb.0:
	s_load_dwordx8 s[8:15], s[4:5], 0x0
	s_lshl_b32 s0, s6, 8
	v_mov_b32_e32 v1, 0x100
	v_mov_b32_e32 v2, 0
	s_waitcnt lgkmcnt(0)
	s_add_u32 s2, s14, s0
	s_addc_u32 s3, s15, 0
	s_sub_u32 s0, s12, s2
	s_subb_u32 s1, s13, s3
	v_cmp_lt_i64_e32 vcc, s[0:1], v[1:2]
	s_and_b64 s[4:5], vcc, exec
	s_cselect_b32 s0, s0, 0x100
	s_cmpk_eq_i32 s0, 0x100
	s_cbranch_scc1 .LBB21_4
; %bb.1:
	v_cmp_gt_u32_e32 vcc, s0, v0
	s_mov_b64 s[4:5], 0
	s_mov_b64 s[0:1], 0
                                        ; implicit-def: $vgpr1_vgpr2
	s_and_saveexec_b64 s[6:7], vcc
; %bb.2:
	s_lshl_b64 s[12:13], s[2:3], 2
	s_add_u32 s12, s8, s12
	s_addc_u32 s13, s9, s13
	v_lshlrev_b32_e32 v1, 2, v0
	v_mov_b32_e32 v2, s13
	v_add_co_u32_e32 v1, vcc, s12, v1
	s_mov_b64 s[0:1], exec
	v_addc_co_u32_e32 v2, vcc, 0, v2, vcc
; %bb.3:
	s_or_b64 exec, exec, s[6:7]
	s_and_b64 vcc, exec, s[4:5]
	s_cbranch_vccnz .LBB21_5
	s_branch .LBB21_6
.LBB21_4:
	s_mov_b64 s[0:1], 0
                                        ; implicit-def: $vgpr1_vgpr2
	s_cbranch_execz .LBB21_6
.LBB21_5:
	s_lshl_b64 s[2:3], s[2:3], 2
	s_add_u32 s2, s8, s2
	s_addc_u32 s3, s9, s3
	v_lshlrev_b32_e32 v0, 2, v0
	v_mov_b32_e32 v2, s3
	v_add_co_u32_e32 v1, vcc, s2, v0
	v_addc_co_u32_e32 v2, vcc, 0, v2, vcc
	s_or_b64 s[0:1], s[0:1], exec
.LBB21_6:
	s_and_saveexec_b64 s[2:3], s[0:1]
	s_cbranch_execnz .LBB21_8
; %bb.7:
	s_endpgm
.LBB21_8:
	flat_load_dword v0, v[1:2]
	v_mov_b32_e32 v2, s11
	s_waitcnt vmcnt(0) lgkmcnt(0)
	v_ashrrev_i32_e32 v1, 31, v0
	v_lshlrev_b64 v[0:1], 2, v[0:1]
	v_add_co_u32_e32 v0, vcc, s10, v0
	v_addc_co_u32_e32 v1, vcc, v2, v1, vcc
	v_mov_b32_e32 v2, 1
	global_store_dword v[0:1], v2, off
	s_endpgm
	.section	.rodata,"a",@progbits
	.p2align	6, 0x0
	.amdhsa_kernel _ZN6thrust23THRUST_200600_302600_NS11hip_rocprim14__parallel_for6kernelILj256ENS1_10for_each_fINS0_6detail15normal_iteratorINS0_10device_ptrIiEEEENS5_16wrapped_functionI21mark_present_for_eachIiEvEEEElLj1EEEvT0_T1_SG_
		.amdhsa_group_segment_fixed_size 0
		.amdhsa_private_segment_fixed_size 0
		.amdhsa_kernarg_size 32
		.amdhsa_user_sgpr_count 6
		.amdhsa_user_sgpr_private_segment_buffer 1
		.amdhsa_user_sgpr_dispatch_ptr 0
		.amdhsa_user_sgpr_queue_ptr 0
		.amdhsa_user_sgpr_kernarg_segment_ptr 1
		.amdhsa_user_sgpr_dispatch_id 0
		.amdhsa_user_sgpr_flat_scratch_init 0
		.amdhsa_user_sgpr_private_segment_size 0
		.amdhsa_uses_dynamic_stack 0
		.amdhsa_system_sgpr_private_segment_wavefront_offset 0
		.amdhsa_system_sgpr_workgroup_id_x 1
		.amdhsa_system_sgpr_workgroup_id_y 0
		.amdhsa_system_sgpr_workgroup_id_z 0
		.amdhsa_system_sgpr_workgroup_info 0
		.amdhsa_system_vgpr_workitem_id 0
		.amdhsa_next_free_vgpr 3
		.amdhsa_next_free_sgpr 16
		.amdhsa_reserve_vcc 1
		.amdhsa_reserve_flat_scratch 0
		.amdhsa_float_round_mode_32 0
		.amdhsa_float_round_mode_16_64 0
		.amdhsa_float_denorm_mode_32 3
		.amdhsa_float_denorm_mode_16_64 3
		.amdhsa_dx10_clamp 1
		.amdhsa_ieee_mode 1
		.amdhsa_fp16_overflow 0
		.amdhsa_exception_fp_ieee_invalid_op 0
		.amdhsa_exception_fp_denorm_src 0
		.amdhsa_exception_fp_ieee_div_zero 0
		.amdhsa_exception_fp_ieee_overflow 0
		.amdhsa_exception_fp_ieee_underflow 0
		.amdhsa_exception_fp_ieee_inexact 0
		.amdhsa_exception_int_div_zero 0
	.end_amdhsa_kernel
	.section	.text._ZN6thrust23THRUST_200600_302600_NS11hip_rocprim14__parallel_for6kernelILj256ENS1_10for_each_fINS0_6detail15normal_iteratorINS0_10device_ptrIiEEEENS5_16wrapped_functionI21mark_present_for_eachIiEvEEEElLj1EEEvT0_T1_SG_,"axG",@progbits,_ZN6thrust23THRUST_200600_302600_NS11hip_rocprim14__parallel_for6kernelILj256ENS1_10for_each_fINS0_6detail15normal_iteratorINS0_10device_ptrIiEEEENS5_16wrapped_functionI21mark_present_for_eachIiEvEEEElLj1EEEvT0_T1_SG_,comdat
.Lfunc_end21:
	.size	_ZN6thrust23THRUST_200600_302600_NS11hip_rocprim14__parallel_for6kernelILj256ENS1_10for_each_fINS0_6detail15normal_iteratorINS0_10device_ptrIiEEEENS5_16wrapped_functionI21mark_present_for_eachIiEvEEEElLj1EEEvT0_T1_SG_, .Lfunc_end21-_ZN6thrust23THRUST_200600_302600_NS11hip_rocprim14__parallel_for6kernelILj256ENS1_10for_each_fINS0_6detail15normal_iteratorINS0_10device_ptrIiEEEENS5_16wrapped_functionI21mark_present_for_eachIiEvEEEElLj1EEEvT0_T1_SG_
                                        ; -- End function
	.set _ZN6thrust23THRUST_200600_302600_NS11hip_rocprim14__parallel_for6kernelILj256ENS1_10for_each_fINS0_6detail15normal_iteratorINS0_10device_ptrIiEEEENS5_16wrapped_functionI21mark_present_for_eachIiEvEEEElLj1EEEvT0_T1_SG_.num_vgpr, 3
	.set _ZN6thrust23THRUST_200600_302600_NS11hip_rocprim14__parallel_for6kernelILj256ENS1_10for_each_fINS0_6detail15normal_iteratorINS0_10device_ptrIiEEEENS5_16wrapped_functionI21mark_present_for_eachIiEvEEEElLj1EEEvT0_T1_SG_.num_agpr, 0
	.set _ZN6thrust23THRUST_200600_302600_NS11hip_rocprim14__parallel_for6kernelILj256ENS1_10for_each_fINS0_6detail15normal_iteratorINS0_10device_ptrIiEEEENS5_16wrapped_functionI21mark_present_for_eachIiEvEEEElLj1EEEvT0_T1_SG_.numbered_sgpr, 16
	.set _ZN6thrust23THRUST_200600_302600_NS11hip_rocprim14__parallel_for6kernelILj256ENS1_10for_each_fINS0_6detail15normal_iteratorINS0_10device_ptrIiEEEENS5_16wrapped_functionI21mark_present_for_eachIiEvEEEElLj1EEEvT0_T1_SG_.num_named_barrier, 0
	.set _ZN6thrust23THRUST_200600_302600_NS11hip_rocprim14__parallel_for6kernelILj256ENS1_10for_each_fINS0_6detail15normal_iteratorINS0_10device_ptrIiEEEENS5_16wrapped_functionI21mark_present_for_eachIiEvEEEElLj1EEEvT0_T1_SG_.private_seg_size, 0
	.set _ZN6thrust23THRUST_200600_302600_NS11hip_rocprim14__parallel_for6kernelILj256ENS1_10for_each_fINS0_6detail15normal_iteratorINS0_10device_ptrIiEEEENS5_16wrapped_functionI21mark_present_for_eachIiEvEEEElLj1EEEvT0_T1_SG_.uses_vcc, 1
	.set _ZN6thrust23THRUST_200600_302600_NS11hip_rocprim14__parallel_for6kernelILj256ENS1_10for_each_fINS0_6detail15normal_iteratorINS0_10device_ptrIiEEEENS5_16wrapped_functionI21mark_present_for_eachIiEvEEEElLj1EEEvT0_T1_SG_.uses_flat_scratch, 0
	.set _ZN6thrust23THRUST_200600_302600_NS11hip_rocprim14__parallel_for6kernelILj256ENS1_10for_each_fINS0_6detail15normal_iteratorINS0_10device_ptrIiEEEENS5_16wrapped_functionI21mark_present_for_eachIiEvEEEElLj1EEEvT0_T1_SG_.has_dyn_sized_stack, 0
	.set _ZN6thrust23THRUST_200600_302600_NS11hip_rocprim14__parallel_for6kernelILj256ENS1_10for_each_fINS0_6detail15normal_iteratorINS0_10device_ptrIiEEEENS5_16wrapped_functionI21mark_present_for_eachIiEvEEEElLj1EEEvT0_T1_SG_.has_recursion, 0
	.set _ZN6thrust23THRUST_200600_302600_NS11hip_rocprim14__parallel_for6kernelILj256ENS1_10for_each_fINS0_6detail15normal_iteratorINS0_10device_ptrIiEEEENS5_16wrapped_functionI21mark_present_for_eachIiEvEEEElLj1EEEvT0_T1_SG_.has_indirect_call, 0
	.section	.AMDGPU.csdata,"",@progbits
; Kernel info:
; codeLenInByte = 236
; TotalNumSgprs: 20
; NumVgprs: 3
; ScratchSize: 0
; MemoryBound: 0
; FloatMode: 240
; IeeeMode: 1
; LDSByteSize: 0 bytes/workgroup (compile time only)
; SGPRBlocks: 2
; VGPRBlocks: 0
; NumSGPRsForWavesPerEU: 20
; NumVGPRsForWavesPerEU: 3
; Occupancy: 10
; WaveLimiterHint : 1
; COMPUTE_PGM_RSRC2:SCRATCH_EN: 0
; COMPUTE_PGM_RSRC2:USER_SGPR: 6
; COMPUTE_PGM_RSRC2:TRAP_HANDLER: 0
; COMPUTE_PGM_RSRC2:TGID_X_EN: 1
; COMPUTE_PGM_RSRC2:TGID_Y_EN: 0
; COMPUTE_PGM_RSRC2:TGID_Z_EN: 0
; COMPUTE_PGM_RSRC2:TIDIG_COMP_CNT: 0
	.section	.text._ZN6thrust23THRUST_200600_302600_NS11hip_rocprim14__parallel_for6kernelILj256ENS1_20__uninitialized_fill7functorINS0_10device_ptrIsEEsEEmLj1EEEvT0_T1_SA_,"axG",@progbits,_ZN6thrust23THRUST_200600_302600_NS11hip_rocprim14__parallel_for6kernelILj256ENS1_20__uninitialized_fill7functorINS0_10device_ptrIsEEsEEmLj1EEEvT0_T1_SA_,comdat
	.protected	_ZN6thrust23THRUST_200600_302600_NS11hip_rocprim14__parallel_for6kernelILj256ENS1_20__uninitialized_fill7functorINS0_10device_ptrIsEEsEEmLj1EEEvT0_T1_SA_ ; -- Begin function _ZN6thrust23THRUST_200600_302600_NS11hip_rocprim14__parallel_for6kernelILj256ENS1_20__uninitialized_fill7functorINS0_10device_ptrIsEEsEEmLj1EEEvT0_T1_SA_
	.globl	_ZN6thrust23THRUST_200600_302600_NS11hip_rocprim14__parallel_for6kernelILj256ENS1_20__uninitialized_fill7functorINS0_10device_ptrIsEEsEEmLj1EEEvT0_T1_SA_
	.p2align	8
	.type	_ZN6thrust23THRUST_200600_302600_NS11hip_rocprim14__parallel_for6kernelILj256ENS1_20__uninitialized_fill7functorINS0_10device_ptrIsEEsEEmLj1EEEvT0_T1_SA_,@function
_ZN6thrust23THRUST_200600_302600_NS11hip_rocprim14__parallel_for6kernelILj256ENS1_20__uninitialized_fill7functorINS0_10device_ptrIsEEsEEmLj1EEEvT0_T1_SA_: ; @_ZN6thrust23THRUST_200600_302600_NS11hip_rocprim14__parallel_for6kernelILj256ENS1_20__uninitialized_fill7functorINS0_10device_ptrIsEEsEEmLj1EEEvT0_T1_SA_
; %bb.0:
	s_load_dwordx4 s[12:15], s[4:5], 0x10
	s_load_dwordx2 s[0:1], s[4:5], 0x0
	s_load_dword s8, s[4:5], 0x8
	s_lshl_b32 s2, s6, 8
	v_mov_b32_e32 v1, 0xff
	s_waitcnt lgkmcnt(0)
	s_add_u32 s2, s14, s2
	s_addc_u32 s3, s15, 0
	s_sub_u32 s4, s12, s2
	v_mov_b32_e32 v2, 0
	s_subb_u32 s5, s13, s3
	v_cmp_gt_u64_e32 vcc, s[4:5], v[1:2]
	s_mov_b64 s[6:7], -1
	s_cbranch_vccz .LBB22_3
; %bb.1:
	s_andn2_b64 vcc, exec, s[6:7]
	s_cbranch_vccz .LBB22_6
.LBB22_2:
	s_endpgm
.LBB22_3:
	v_cmp_gt_u32_e32 vcc, s4, v0
	s_and_saveexec_b64 s[4:5], vcc
	s_cbranch_execz .LBB22_5
; %bb.4:
	s_lshl_b64 s[6:7], s[2:3], 1
	s_add_u32 s6, s0, s6
	s_addc_u32 s7, s1, s7
	v_lshlrev_b32_e32 v1, 1, v0
	v_mov_b32_e32 v2, s7
	v_add_co_u32_e32 v1, vcc, s6, v1
	v_addc_co_u32_e32 v2, vcc, 0, v2, vcc
	v_mov_b32_e32 v3, s8
	flat_store_short v[1:2], v3
.LBB22_5:
	s_or_b64 exec, exec, s[4:5]
	s_cbranch_execnz .LBB22_2
.LBB22_6:
	s_lshl_b64 s[2:3], s[2:3], 1
	s_add_u32 s0, s0, s2
	s_addc_u32 s1, s1, s3
	v_lshlrev_b32_e32 v0, 1, v0
	v_mov_b32_e32 v1, s1
	v_add_co_u32_e32 v0, vcc, s0, v0
	v_addc_co_u32_e32 v1, vcc, 0, v1, vcc
	v_mov_b32_e32 v2, s8
	flat_store_short v[0:1], v2
	s_endpgm
	.section	.rodata,"a",@progbits
	.p2align	6, 0x0
	.amdhsa_kernel _ZN6thrust23THRUST_200600_302600_NS11hip_rocprim14__parallel_for6kernelILj256ENS1_20__uninitialized_fill7functorINS0_10device_ptrIsEEsEEmLj1EEEvT0_T1_SA_
		.amdhsa_group_segment_fixed_size 0
		.amdhsa_private_segment_fixed_size 0
		.amdhsa_kernarg_size 32
		.amdhsa_user_sgpr_count 6
		.amdhsa_user_sgpr_private_segment_buffer 1
		.amdhsa_user_sgpr_dispatch_ptr 0
		.amdhsa_user_sgpr_queue_ptr 0
		.amdhsa_user_sgpr_kernarg_segment_ptr 1
		.amdhsa_user_sgpr_dispatch_id 0
		.amdhsa_user_sgpr_flat_scratch_init 0
		.amdhsa_user_sgpr_private_segment_size 0
		.amdhsa_uses_dynamic_stack 0
		.amdhsa_system_sgpr_private_segment_wavefront_offset 0
		.amdhsa_system_sgpr_workgroup_id_x 1
		.amdhsa_system_sgpr_workgroup_id_y 0
		.amdhsa_system_sgpr_workgroup_id_z 0
		.amdhsa_system_sgpr_workgroup_info 0
		.amdhsa_system_vgpr_workitem_id 0
		.amdhsa_next_free_vgpr 4
		.amdhsa_next_free_sgpr 16
		.amdhsa_reserve_vcc 1
		.amdhsa_reserve_flat_scratch 0
		.amdhsa_float_round_mode_32 0
		.amdhsa_float_round_mode_16_64 0
		.amdhsa_float_denorm_mode_32 3
		.amdhsa_float_denorm_mode_16_64 3
		.amdhsa_dx10_clamp 1
		.amdhsa_ieee_mode 1
		.amdhsa_fp16_overflow 0
		.amdhsa_exception_fp_ieee_invalid_op 0
		.amdhsa_exception_fp_denorm_src 0
		.amdhsa_exception_fp_ieee_div_zero 0
		.amdhsa_exception_fp_ieee_overflow 0
		.amdhsa_exception_fp_ieee_underflow 0
		.amdhsa_exception_fp_ieee_inexact 0
		.amdhsa_exception_int_div_zero 0
	.end_amdhsa_kernel
	.section	.text._ZN6thrust23THRUST_200600_302600_NS11hip_rocprim14__parallel_for6kernelILj256ENS1_20__uninitialized_fill7functorINS0_10device_ptrIsEEsEEmLj1EEEvT0_T1_SA_,"axG",@progbits,_ZN6thrust23THRUST_200600_302600_NS11hip_rocprim14__parallel_for6kernelILj256ENS1_20__uninitialized_fill7functorINS0_10device_ptrIsEEsEEmLj1EEEvT0_T1_SA_,comdat
.Lfunc_end22:
	.size	_ZN6thrust23THRUST_200600_302600_NS11hip_rocprim14__parallel_for6kernelILj256ENS1_20__uninitialized_fill7functorINS0_10device_ptrIsEEsEEmLj1EEEvT0_T1_SA_, .Lfunc_end22-_ZN6thrust23THRUST_200600_302600_NS11hip_rocprim14__parallel_for6kernelILj256ENS1_20__uninitialized_fill7functorINS0_10device_ptrIsEEsEEmLj1EEEvT0_T1_SA_
                                        ; -- End function
	.set _ZN6thrust23THRUST_200600_302600_NS11hip_rocprim14__parallel_for6kernelILj256ENS1_20__uninitialized_fill7functorINS0_10device_ptrIsEEsEEmLj1EEEvT0_T1_SA_.num_vgpr, 4
	.set _ZN6thrust23THRUST_200600_302600_NS11hip_rocprim14__parallel_for6kernelILj256ENS1_20__uninitialized_fill7functorINS0_10device_ptrIsEEsEEmLj1EEEvT0_T1_SA_.num_agpr, 0
	.set _ZN6thrust23THRUST_200600_302600_NS11hip_rocprim14__parallel_for6kernelILj256ENS1_20__uninitialized_fill7functorINS0_10device_ptrIsEEsEEmLj1EEEvT0_T1_SA_.numbered_sgpr, 16
	.set _ZN6thrust23THRUST_200600_302600_NS11hip_rocprim14__parallel_for6kernelILj256ENS1_20__uninitialized_fill7functorINS0_10device_ptrIsEEsEEmLj1EEEvT0_T1_SA_.num_named_barrier, 0
	.set _ZN6thrust23THRUST_200600_302600_NS11hip_rocprim14__parallel_for6kernelILj256ENS1_20__uninitialized_fill7functorINS0_10device_ptrIsEEsEEmLj1EEEvT0_T1_SA_.private_seg_size, 0
	.set _ZN6thrust23THRUST_200600_302600_NS11hip_rocprim14__parallel_for6kernelILj256ENS1_20__uninitialized_fill7functorINS0_10device_ptrIsEEsEEmLj1EEEvT0_T1_SA_.uses_vcc, 1
	.set _ZN6thrust23THRUST_200600_302600_NS11hip_rocprim14__parallel_for6kernelILj256ENS1_20__uninitialized_fill7functorINS0_10device_ptrIsEEsEEmLj1EEEvT0_T1_SA_.uses_flat_scratch, 0
	.set _ZN6thrust23THRUST_200600_302600_NS11hip_rocprim14__parallel_for6kernelILj256ENS1_20__uninitialized_fill7functorINS0_10device_ptrIsEEsEEmLj1EEEvT0_T1_SA_.has_dyn_sized_stack, 0
	.set _ZN6thrust23THRUST_200600_302600_NS11hip_rocprim14__parallel_for6kernelILj256ENS1_20__uninitialized_fill7functorINS0_10device_ptrIsEEsEEmLj1EEEvT0_T1_SA_.has_recursion, 0
	.set _ZN6thrust23THRUST_200600_302600_NS11hip_rocprim14__parallel_for6kernelILj256ENS1_20__uninitialized_fill7functorINS0_10device_ptrIsEEsEEmLj1EEEvT0_T1_SA_.has_indirect_call, 0
	.section	.AMDGPU.csdata,"",@progbits
; Kernel info:
; codeLenInByte = 188
; TotalNumSgprs: 20
; NumVgprs: 4
; ScratchSize: 0
; MemoryBound: 0
; FloatMode: 240
; IeeeMode: 1
; LDSByteSize: 0 bytes/workgroup (compile time only)
; SGPRBlocks: 2
; VGPRBlocks: 0
; NumSGPRsForWavesPerEU: 20
; NumVGPRsForWavesPerEU: 4
; Occupancy: 10
; WaveLimiterHint : 0
; COMPUTE_PGM_RSRC2:SCRATCH_EN: 0
; COMPUTE_PGM_RSRC2:USER_SGPR: 6
; COMPUTE_PGM_RSRC2:TRAP_HANDLER: 0
; COMPUTE_PGM_RSRC2:TGID_X_EN: 1
; COMPUTE_PGM_RSRC2:TGID_Y_EN: 0
; COMPUTE_PGM_RSRC2:TGID_Z_EN: 0
; COMPUTE_PGM_RSRC2:TIDIG_COMP_CNT: 0
	.section	.text._ZN6thrust23THRUST_200600_302600_NS11hip_rocprim14__parallel_for6kernelILj256ENS1_10for_each_fINS0_6detail15normal_iteratorINS0_10device_ptrIsEEEENS5_16wrapped_functionI21mark_present_for_eachIsEvEEEElLj1EEEvT0_T1_SG_,"axG",@progbits,_ZN6thrust23THRUST_200600_302600_NS11hip_rocprim14__parallel_for6kernelILj256ENS1_10for_each_fINS0_6detail15normal_iteratorINS0_10device_ptrIsEEEENS5_16wrapped_functionI21mark_present_for_eachIsEvEEEElLj1EEEvT0_T1_SG_,comdat
	.protected	_ZN6thrust23THRUST_200600_302600_NS11hip_rocprim14__parallel_for6kernelILj256ENS1_10for_each_fINS0_6detail15normal_iteratorINS0_10device_ptrIsEEEENS5_16wrapped_functionI21mark_present_for_eachIsEvEEEElLj1EEEvT0_T1_SG_ ; -- Begin function _ZN6thrust23THRUST_200600_302600_NS11hip_rocprim14__parallel_for6kernelILj256ENS1_10for_each_fINS0_6detail15normal_iteratorINS0_10device_ptrIsEEEENS5_16wrapped_functionI21mark_present_for_eachIsEvEEEElLj1EEEvT0_T1_SG_
	.globl	_ZN6thrust23THRUST_200600_302600_NS11hip_rocprim14__parallel_for6kernelILj256ENS1_10for_each_fINS0_6detail15normal_iteratorINS0_10device_ptrIsEEEENS5_16wrapped_functionI21mark_present_for_eachIsEvEEEElLj1EEEvT0_T1_SG_
	.p2align	8
	.type	_ZN6thrust23THRUST_200600_302600_NS11hip_rocprim14__parallel_for6kernelILj256ENS1_10for_each_fINS0_6detail15normal_iteratorINS0_10device_ptrIsEEEENS5_16wrapped_functionI21mark_present_for_eachIsEvEEEElLj1EEEvT0_T1_SG_,@function
_ZN6thrust23THRUST_200600_302600_NS11hip_rocprim14__parallel_for6kernelILj256ENS1_10for_each_fINS0_6detail15normal_iteratorINS0_10device_ptrIsEEEENS5_16wrapped_functionI21mark_present_for_eachIsEvEEEElLj1EEEvT0_T1_SG_: ; @_ZN6thrust23THRUST_200600_302600_NS11hip_rocprim14__parallel_for6kernelILj256ENS1_10for_each_fINS0_6detail15normal_iteratorINS0_10device_ptrIsEEEENS5_16wrapped_functionI21mark_present_for_eachIsEvEEEElLj1EEEvT0_T1_SG_
; %bb.0:
	s_load_dwordx8 s[8:15], s[4:5], 0x0
	s_lshl_b32 s0, s6, 8
	v_mov_b32_e32 v1, 0x100
	v_mov_b32_e32 v2, 0
	s_waitcnt lgkmcnt(0)
	s_add_u32 s2, s14, s0
	s_addc_u32 s3, s15, 0
	s_sub_u32 s0, s12, s2
	s_subb_u32 s1, s13, s3
	v_cmp_lt_i64_e32 vcc, s[0:1], v[1:2]
	s_and_b64 s[4:5], vcc, exec
	s_cselect_b32 s0, s0, 0x100
	s_cmpk_eq_i32 s0, 0x100
	s_cbranch_scc1 .LBB23_4
; %bb.1:
	v_cmp_gt_u32_e32 vcc, s0, v0
	s_mov_b64 s[4:5], 0
	s_mov_b64 s[0:1], 0
                                        ; implicit-def: $vgpr1_vgpr2
	s_and_saveexec_b64 s[6:7], vcc
; %bb.2:
	s_lshl_b64 s[12:13], s[2:3], 1
	s_add_u32 s12, s8, s12
	s_addc_u32 s13, s9, s13
	v_lshlrev_b32_e32 v1, 1, v0
	v_mov_b32_e32 v2, s13
	v_add_co_u32_e32 v1, vcc, s12, v1
	s_mov_b64 s[0:1], exec
	v_addc_co_u32_e32 v2, vcc, 0, v2, vcc
; %bb.3:
	s_or_b64 exec, exec, s[6:7]
	s_and_b64 vcc, exec, s[4:5]
	s_cbranch_vccnz .LBB23_5
	s_branch .LBB23_6
.LBB23_4:
	s_mov_b64 s[0:1], 0
                                        ; implicit-def: $vgpr1_vgpr2
	s_cbranch_execz .LBB23_6
.LBB23_5:
	s_lshl_b64 s[2:3], s[2:3], 1
	s_add_u32 s2, s8, s2
	s_addc_u32 s3, s9, s3
	v_lshlrev_b32_e32 v0, 1, v0
	v_mov_b32_e32 v2, s3
	v_add_co_u32_e32 v1, vcc, s2, v0
	v_addc_co_u32_e32 v2, vcc, 0, v2, vcc
	s_or_b64 s[0:1], s[0:1], exec
.LBB23_6:
	s_and_saveexec_b64 s[2:3], s[0:1]
	s_cbranch_execnz .LBB23_8
; %bb.7:
	s_endpgm
.LBB23_8:
	flat_load_ushort v0, v[1:2]
	v_mov_b32_e32 v2, s11
	s_waitcnt vmcnt(0) lgkmcnt(0)
	v_bfe_i32 v0, v0, 0, 16
	v_ashrrev_i32_e32 v1, 31, v0
	v_lshlrev_b64 v[0:1], 1, v[0:1]
	v_add_co_u32_e32 v0, vcc, s10, v0
	v_addc_co_u32_e32 v1, vcc, v2, v1, vcc
	v_mov_b32_e32 v2, 1
	global_store_short v[0:1], v2, off
	s_endpgm
	.section	.rodata,"a",@progbits
	.p2align	6, 0x0
	.amdhsa_kernel _ZN6thrust23THRUST_200600_302600_NS11hip_rocprim14__parallel_for6kernelILj256ENS1_10for_each_fINS0_6detail15normal_iteratorINS0_10device_ptrIsEEEENS5_16wrapped_functionI21mark_present_for_eachIsEvEEEElLj1EEEvT0_T1_SG_
		.amdhsa_group_segment_fixed_size 0
		.amdhsa_private_segment_fixed_size 0
		.amdhsa_kernarg_size 32
		.amdhsa_user_sgpr_count 6
		.amdhsa_user_sgpr_private_segment_buffer 1
		.amdhsa_user_sgpr_dispatch_ptr 0
		.amdhsa_user_sgpr_queue_ptr 0
		.amdhsa_user_sgpr_kernarg_segment_ptr 1
		.amdhsa_user_sgpr_dispatch_id 0
		.amdhsa_user_sgpr_flat_scratch_init 0
		.amdhsa_user_sgpr_private_segment_size 0
		.amdhsa_uses_dynamic_stack 0
		.amdhsa_system_sgpr_private_segment_wavefront_offset 0
		.amdhsa_system_sgpr_workgroup_id_x 1
		.amdhsa_system_sgpr_workgroup_id_y 0
		.amdhsa_system_sgpr_workgroup_id_z 0
		.amdhsa_system_sgpr_workgroup_info 0
		.amdhsa_system_vgpr_workitem_id 0
		.amdhsa_next_free_vgpr 3
		.amdhsa_next_free_sgpr 16
		.amdhsa_reserve_vcc 1
		.amdhsa_reserve_flat_scratch 0
		.amdhsa_float_round_mode_32 0
		.amdhsa_float_round_mode_16_64 0
		.amdhsa_float_denorm_mode_32 3
		.amdhsa_float_denorm_mode_16_64 3
		.amdhsa_dx10_clamp 1
		.amdhsa_ieee_mode 1
		.amdhsa_fp16_overflow 0
		.amdhsa_exception_fp_ieee_invalid_op 0
		.amdhsa_exception_fp_denorm_src 0
		.amdhsa_exception_fp_ieee_div_zero 0
		.amdhsa_exception_fp_ieee_overflow 0
		.amdhsa_exception_fp_ieee_underflow 0
		.amdhsa_exception_fp_ieee_inexact 0
		.amdhsa_exception_int_div_zero 0
	.end_amdhsa_kernel
	.section	.text._ZN6thrust23THRUST_200600_302600_NS11hip_rocprim14__parallel_for6kernelILj256ENS1_10for_each_fINS0_6detail15normal_iteratorINS0_10device_ptrIsEEEENS5_16wrapped_functionI21mark_present_for_eachIsEvEEEElLj1EEEvT0_T1_SG_,"axG",@progbits,_ZN6thrust23THRUST_200600_302600_NS11hip_rocprim14__parallel_for6kernelILj256ENS1_10for_each_fINS0_6detail15normal_iteratorINS0_10device_ptrIsEEEENS5_16wrapped_functionI21mark_present_for_eachIsEvEEEElLj1EEEvT0_T1_SG_,comdat
.Lfunc_end23:
	.size	_ZN6thrust23THRUST_200600_302600_NS11hip_rocprim14__parallel_for6kernelILj256ENS1_10for_each_fINS0_6detail15normal_iteratorINS0_10device_ptrIsEEEENS5_16wrapped_functionI21mark_present_for_eachIsEvEEEElLj1EEEvT0_T1_SG_, .Lfunc_end23-_ZN6thrust23THRUST_200600_302600_NS11hip_rocprim14__parallel_for6kernelILj256ENS1_10for_each_fINS0_6detail15normal_iteratorINS0_10device_ptrIsEEEENS5_16wrapped_functionI21mark_present_for_eachIsEvEEEElLj1EEEvT0_T1_SG_
                                        ; -- End function
	.set _ZN6thrust23THRUST_200600_302600_NS11hip_rocprim14__parallel_for6kernelILj256ENS1_10for_each_fINS0_6detail15normal_iteratorINS0_10device_ptrIsEEEENS5_16wrapped_functionI21mark_present_for_eachIsEvEEEElLj1EEEvT0_T1_SG_.num_vgpr, 3
	.set _ZN6thrust23THRUST_200600_302600_NS11hip_rocprim14__parallel_for6kernelILj256ENS1_10for_each_fINS0_6detail15normal_iteratorINS0_10device_ptrIsEEEENS5_16wrapped_functionI21mark_present_for_eachIsEvEEEElLj1EEEvT0_T1_SG_.num_agpr, 0
	.set _ZN6thrust23THRUST_200600_302600_NS11hip_rocprim14__parallel_for6kernelILj256ENS1_10for_each_fINS0_6detail15normal_iteratorINS0_10device_ptrIsEEEENS5_16wrapped_functionI21mark_present_for_eachIsEvEEEElLj1EEEvT0_T1_SG_.numbered_sgpr, 16
	.set _ZN6thrust23THRUST_200600_302600_NS11hip_rocprim14__parallel_for6kernelILj256ENS1_10for_each_fINS0_6detail15normal_iteratorINS0_10device_ptrIsEEEENS5_16wrapped_functionI21mark_present_for_eachIsEvEEEElLj1EEEvT0_T1_SG_.num_named_barrier, 0
	.set _ZN6thrust23THRUST_200600_302600_NS11hip_rocprim14__parallel_for6kernelILj256ENS1_10for_each_fINS0_6detail15normal_iteratorINS0_10device_ptrIsEEEENS5_16wrapped_functionI21mark_present_for_eachIsEvEEEElLj1EEEvT0_T1_SG_.private_seg_size, 0
	.set _ZN6thrust23THRUST_200600_302600_NS11hip_rocprim14__parallel_for6kernelILj256ENS1_10for_each_fINS0_6detail15normal_iteratorINS0_10device_ptrIsEEEENS5_16wrapped_functionI21mark_present_for_eachIsEvEEEElLj1EEEvT0_T1_SG_.uses_vcc, 1
	.set _ZN6thrust23THRUST_200600_302600_NS11hip_rocprim14__parallel_for6kernelILj256ENS1_10for_each_fINS0_6detail15normal_iteratorINS0_10device_ptrIsEEEENS5_16wrapped_functionI21mark_present_for_eachIsEvEEEElLj1EEEvT0_T1_SG_.uses_flat_scratch, 0
	.set _ZN6thrust23THRUST_200600_302600_NS11hip_rocprim14__parallel_for6kernelILj256ENS1_10for_each_fINS0_6detail15normal_iteratorINS0_10device_ptrIsEEEENS5_16wrapped_functionI21mark_present_for_eachIsEvEEEElLj1EEEvT0_T1_SG_.has_dyn_sized_stack, 0
	.set _ZN6thrust23THRUST_200600_302600_NS11hip_rocprim14__parallel_for6kernelILj256ENS1_10for_each_fINS0_6detail15normal_iteratorINS0_10device_ptrIsEEEENS5_16wrapped_functionI21mark_present_for_eachIsEvEEEElLj1EEEvT0_T1_SG_.has_recursion, 0
	.set _ZN6thrust23THRUST_200600_302600_NS11hip_rocprim14__parallel_for6kernelILj256ENS1_10for_each_fINS0_6detail15normal_iteratorINS0_10device_ptrIsEEEENS5_16wrapped_functionI21mark_present_for_eachIsEvEEEElLj1EEEvT0_T1_SG_.has_indirect_call, 0
	.section	.AMDGPU.csdata,"",@progbits
; Kernel info:
; codeLenInByte = 244
; TotalNumSgprs: 20
; NumVgprs: 3
; ScratchSize: 0
; MemoryBound: 0
; FloatMode: 240
; IeeeMode: 1
; LDSByteSize: 0 bytes/workgroup (compile time only)
; SGPRBlocks: 2
; VGPRBlocks: 0
; NumSGPRsForWavesPerEU: 20
; NumVGPRsForWavesPerEU: 3
; Occupancy: 10
; WaveLimiterHint : 1
; COMPUTE_PGM_RSRC2:SCRATCH_EN: 0
; COMPUTE_PGM_RSRC2:USER_SGPR: 6
; COMPUTE_PGM_RSRC2:TRAP_HANDLER: 0
; COMPUTE_PGM_RSRC2:TGID_X_EN: 1
; COMPUTE_PGM_RSRC2:TGID_Y_EN: 0
; COMPUTE_PGM_RSRC2:TGID_Z_EN: 0
; COMPUTE_PGM_RSRC2:TIDIG_COMP_CNT: 0
	.section	.text._ZN6thrust23THRUST_200600_302600_NS11hip_rocprim14__parallel_for6kernelILj256ENS1_20__uninitialized_fill7functorINS0_10device_ptrIiEEiEEmLj1EEEvT0_T1_SA_,"axG",@progbits,_ZN6thrust23THRUST_200600_302600_NS11hip_rocprim14__parallel_for6kernelILj256ENS1_20__uninitialized_fill7functorINS0_10device_ptrIiEEiEEmLj1EEEvT0_T1_SA_,comdat
	.protected	_ZN6thrust23THRUST_200600_302600_NS11hip_rocprim14__parallel_for6kernelILj256ENS1_20__uninitialized_fill7functorINS0_10device_ptrIiEEiEEmLj1EEEvT0_T1_SA_ ; -- Begin function _ZN6thrust23THRUST_200600_302600_NS11hip_rocprim14__parallel_for6kernelILj256ENS1_20__uninitialized_fill7functorINS0_10device_ptrIiEEiEEmLj1EEEvT0_T1_SA_
	.globl	_ZN6thrust23THRUST_200600_302600_NS11hip_rocprim14__parallel_for6kernelILj256ENS1_20__uninitialized_fill7functorINS0_10device_ptrIiEEiEEmLj1EEEvT0_T1_SA_
	.p2align	8
	.type	_ZN6thrust23THRUST_200600_302600_NS11hip_rocprim14__parallel_for6kernelILj256ENS1_20__uninitialized_fill7functorINS0_10device_ptrIiEEiEEmLj1EEEvT0_T1_SA_,@function
_ZN6thrust23THRUST_200600_302600_NS11hip_rocprim14__parallel_for6kernelILj256ENS1_20__uninitialized_fill7functorINS0_10device_ptrIiEEiEEmLj1EEEvT0_T1_SA_: ; @_ZN6thrust23THRUST_200600_302600_NS11hip_rocprim14__parallel_for6kernelILj256ENS1_20__uninitialized_fill7functorINS0_10device_ptrIiEEiEEmLj1EEEvT0_T1_SA_
; %bb.0:
	s_load_dwordx4 s[12:15], s[4:5], 0x10
	s_load_dwordx2 s[0:1], s[4:5], 0x0
	s_load_dword s8, s[4:5], 0x8
	s_lshl_b32 s2, s6, 8
	v_mov_b32_e32 v1, 0xff
	s_waitcnt lgkmcnt(0)
	s_add_u32 s2, s14, s2
	s_addc_u32 s3, s15, 0
	s_sub_u32 s4, s12, s2
	v_mov_b32_e32 v2, 0
	s_subb_u32 s5, s13, s3
	v_cmp_gt_u64_e32 vcc, s[4:5], v[1:2]
	s_mov_b64 s[6:7], -1
	s_cbranch_vccz .LBB24_3
; %bb.1:
	s_andn2_b64 vcc, exec, s[6:7]
	s_cbranch_vccz .LBB24_6
.LBB24_2:
	s_endpgm
.LBB24_3:
	v_cmp_gt_u32_e32 vcc, s4, v0
	s_and_saveexec_b64 s[4:5], vcc
	s_cbranch_execz .LBB24_5
; %bb.4:
	s_lshl_b64 s[6:7], s[2:3], 2
	s_add_u32 s6, s0, s6
	s_addc_u32 s7, s1, s7
	v_lshlrev_b32_e32 v1, 2, v0
	v_mov_b32_e32 v2, s7
	v_add_co_u32_e32 v1, vcc, s6, v1
	v_addc_co_u32_e32 v2, vcc, 0, v2, vcc
	v_mov_b32_e32 v3, s8
	flat_store_dword v[1:2], v3
.LBB24_5:
	s_or_b64 exec, exec, s[4:5]
	s_cbranch_execnz .LBB24_2
.LBB24_6:
	s_lshl_b64 s[2:3], s[2:3], 2
	s_add_u32 s0, s0, s2
	s_addc_u32 s1, s1, s3
	v_lshlrev_b32_e32 v0, 2, v0
	v_mov_b32_e32 v1, s1
	v_add_co_u32_e32 v0, vcc, s0, v0
	v_addc_co_u32_e32 v1, vcc, 0, v1, vcc
	v_mov_b32_e32 v2, s8
	flat_store_dword v[0:1], v2
	s_endpgm
	.section	.rodata,"a",@progbits
	.p2align	6, 0x0
	.amdhsa_kernel _ZN6thrust23THRUST_200600_302600_NS11hip_rocprim14__parallel_for6kernelILj256ENS1_20__uninitialized_fill7functorINS0_10device_ptrIiEEiEEmLj1EEEvT0_T1_SA_
		.amdhsa_group_segment_fixed_size 0
		.amdhsa_private_segment_fixed_size 0
		.amdhsa_kernarg_size 32
		.amdhsa_user_sgpr_count 6
		.amdhsa_user_sgpr_private_segment_buffer 1
		.amdhsa_user_sgpr_dispatch_ptr 0
		.amdhsa_user_sgpr_queue_ptr 0
		.amdhsa_user_sgpr_kernarg_segment_ptr 1
		.amdhsa_user_sgpr_dispatch_id 0
		.amdhsa_user_sgpr_flat_scratch_init 0
		.amdhsa_user_sgpr_private_segment_size 0
		.amdhsa_uses_dynamic_stack 0
		.amdhsa_system_sgpr_private_segment_wavefront_offset 0
		.amdhsa_system_sgpr_workgroup_id_x 1
		.amdhsa_system_sgpr_workgroup_id_y 0
		.amdhsa_system_sgpr_workgroup_id_z 0
		.amdhsa_system_sgpr_workgroup_info 0
		.amdhsa_system_vgpr_workitem_id 0
		.amdhsa_next_free_vgpr 4
		.amdhsa_next_free_sgpr 16
		.amdhsa_reserve_vcc 1
		.amdhsa_reserve_flat_scratch 0
		.amdhsa_float_round_mode_32 0
		.amdhsa_float_round_mode_16_64 0
		.amdhsa_float_denorm_mode_32 3
		.amdhsa_float_denorm_mode_16_64 3
		.amdhsa_dx10_clamp 1
		.amdhsa_ieee_mode 1
		.amdhsa_fp16_overflow 0
		.amdhsa_exception_fp_ieee_invalid_op 0
		.amdhsa_exception_fp_denorm_src 0
		.amdhsa_exception_fp_ieee_div_zero 0
		.amdhsa_exception_fp_ieee_overflow 0
		.amdhsa_exception_fp_ieee_underflow 0
		.amdhsa_exception_fp_ieee_inexact 0
		.amdhsa_exception_int_div_zero 0
	.end_amdhsa_kernel
	.section	.text._ZN6thrust23THRUST_200600_302600_NS11hip_rocprim14__parallel_for6kernelILj256ENS1_20__uninitialized_fill7functorINS0_10device_ptrIiEEiEEmLj1EEEvT0_T1_SA_,"axG",@progbits,_ZN6thrust23THRUST_200600_302600_NS11hip_rocprim14__parallel_for6kernelILj256ENS1_20__uninitialized_fill7functorINS0_10device_ptrIiEEiEEmLj1EEEvT0_T1_SA_,comdat
.Lfunc_end24:
	.size	_ZN6thrust23THRUST_200600_302600_NS11hip_rocprim14__parallel_for6kernelILj256ENS1_20__uninitialized_fill7functorINS0_10device_ptrIiEEiEEmLj1EEEvT0_T1_SA_, .Lfunc_end24-_ZN6thrust23THRUST_200600_302600_NS11hip_rocprim14__parallel_for6kernelILj256ENS1_20__uninitialized_fill7functorINS0_10device_ptrIiEEiEEmLj1EEEvT0_T1_SA_
                                        ; -- End function
	.set _ZN6thrust23THRUST_200600_302600_NS11hip_rocprim14__parallel_for6kernelILj256ENS1_20__uninitialized_fill7functorINS0_10device_ptrIiEEiEEmLj1EEEvT0_T1_SA_.num_vgpr, 4
	.set _ZN6thrust23THRUST_200600_302600_NS11hip_rocprim14__parallel_for6kernelILj256ENS1_20__uninitialized_fill7functorINS0_10device_ptrIiEEiEEmLj1EEEvT0_T1_SA_.num_agpr, 0
	.set _ZN6thrust23THRUST_200600_302600_NS11hip_rocprim14__parallel_for6kernelILj256ENS1_20__uninitialized_fill7functorINS0_10device_ptrIiEEiEEmLj1EEEvT0_T1_SA_.numbered_sgpr, 16
	.set _ZN6thrust23THRUST_200600_302600_NS11hip_rocprim14__parallel_for6kernelILj256ENS1_20__uninitialized_fill7functorINS0_10device_ptrIiEEiEEmLj1EEEvT0_T1_SA_.num_named_barrier, 0
	.set _ZN6thrust23THRUST_200600_302600_NS11hip_rocprim14__parallel_for6kernelILj256ENS1_20__uninitialized_fill7functorINS0_10device_ptrIiEEiEEmLj1EEEvT0_T1_SA_.private_seg_size, 0
	.set _ZN6thrust23THRUST_200600_302600_NS11hip_rocprim14__parallel_for6kernelILj256ENS1_20__uninitialized_fill7functorINS0_10device_ptrIiEEiEEmLj1EEEvT0_T1_SA_.uses_vcc, 1
	.set _ZN6thrust23THRUST_200600_302600_NS11hip_rocprim14__parallel_for6kernelILj256ENS1_20__uninitialized_fill7functorINS0_10device_ptrIiEEiEEmLj1EEEvT0_T1_SA_.uses_flat_scratch, 0
	.set _ZN6thrust23THRUST_200600_302600_NS11hip_rocprim14__parallel_for6kernelILj256ENS1_20__uninitialized_fill7functorINS0_10device_ptrIiEEiEEmLj1EEEvT0_T1_SA_.has_dyn_sized_stack, 0
	.set _ZN6thrust23THRUST_200600_302600_NS11hip_rocprim14__parallel_for6kernelILj256ENS1_20__uninitialized_fill7functorINS0_10device_ptrIiEEiEEmLj1EEEvT0_T1_SA_.has_recursion, 0
	.set _ZN6thrust23THRUST_200600_302600_NS11hip_rocprim14__parallel_for6kernelILj256ENS1_20__uninitialized_fill7functorINS0_10device_ptrIiEEiEEmLj1EEEvT0_T1_SA_.has_indirect_call, 0
	.section	.AMDGPU.csdata,"",@progbits
; Kernel info:
; codeLenInByte = 188
; TotalNumSgprs: 20
; NumVgprs: 4
; ScratchSize: 0
; MemoryBound: 0
; FloatMode: 240
; IeeeMode: 1
; LDSByteSize: 0 bytes/workgroup (compile time only)
; SGPRBlocks: 2
; VGPRBlocks: 0
; NumSGPRsForWavesPerEU: 20
; NumVGPRsForWavesPerEU: 4
; Occupancy: 10
; WaveLimiterHint : 0
; COMPUTE_PGM_RSRC2:SCRATCH_EN: 0
; COMPUTE_PGM_RSRC2:USER_SGPR: 6
; COMPUTE_PGM_RSRC2:TRAP_HANDLER: 0
; COMPUTE_PGM_RSRC2:TGID_X_EN: 1
; COMPUTE_PGM_RSRC2:TGID_Y_EN: 0
; COMPUTE_PGM_RSRC2:TGID_Z_EN: 0
; COMPUTE_PGM_RSRC2:TIDIG_COMP_CNT: 0
	.section	.text._ZN6thrust23THRUST_200600_302600_NS11hip_rocprim14__parallel_for6kernelILj256ENS1_10for_each_fINS0_6detail15normal_iteratorINS0_10device_ptrIdEEEENS5_16wrapped_functionI21mark_present_for_eachIdEvEEEEmLj1EEEvT0_T1_SG_,"axG",@progbits,_ZN6thrust23THRUST_200600_302600_NS11hip_rocprim14__parallel_for6kernelILj256ENS1_10for_each_fINS0_6detail15normal_iteratorINS0_10device_ptrIdEEEENS5_16wrapped_functionI21mark_present_for_eachIdEvEEEEmLj1EEEvT0_T1_SG_,comdat
	.protected	_ZN6thrust23THRUST_200600_302600_NS11hip_rocprim14__parallel_for6kernelILj256ENS1_10for_each_fINS0_6detail15normal_iteratorINS0_10device_ptrIdEEEENS5_16wrapped_functionI21mark_present_for_eachIdEvEEEEmLj1EEEvT0_T1_SG_ ; -- Begin function _ZN6thrust23THRUST_200600_302600_NS11hip_rocprim14__parallel_for6kernelILj256ENS1_10for_each_fINS0_6detail15normal_iteratorINS0_10device_ptrIdEEEENS5_16wrapped_functionI21mark_present_for_eachIdEvEEEEmLj1EEEvT0_T1_SG_
	.globl	_ZN6thrust23THRUST_200600_302600_NS11hip_rocprim14__parallel_for6kernelILj256ENS1_10for_each_fINS0_6detail15normal_iteratorINS0_10device_ptrIdEEEENS5_16wrapped_functionI21mark_present_for_eachIdEvEEEEmLj1EEEvT0_T1_SG_
	.p2align	8
	.type	_ZN6thrust23THRUST_200600_302600_NS11hip_rocprim14__parallel_for6kernelILj256ENS1_10for_each_fINS0_6detail15normal_iteratorINS0_10device_ptrIdEEEENS5_16wrapped_functionI21mark_present_for_eachIdEvEEEEmLj1EEEvT0_T1_SG_,@function
_ZN6thrust23THRUST_200600_302600_NS11hip_rocprim14__parallel_for6kernelILj256ENS1_10for_each_fINS0_6detail15normal_iteratorINS0_10device_ptrIdEEEENS5_16wrapped_functionI21mark_present_for_eachIdEvEEEEmLj1EEEvT0_T1_SG_: ; @_ZN6thrust23THRUST_200600_302600_NS11hip_rocprim14__parallel_for6kernelILj256ENS1_10for_each_fINS0_6detail15normal_iteratorINS0_10device_ptrIdEEEENS5_16wrapped_functionI21mark_present_for_eachIdEvEEEEmLj1EEEvT0_T1_SG_
; %bb.0:
	s_load_dwordx8 s[8:15], s[4:5], 0x0
	s_lshl_b32 s0, s6, 8
	v_mov_b32_e32 v1, 0xff
	v_mov_b32_e32 v2, 0
	s_waitcnt lgkmcnt(0)
	s_add_u32 s2, s14, s0
	s_addc_u32 s3, s15, 0
	s_sub_u32 s0, s12, s2
	s_subb_u32 s1, s13, s3
	v_cmp_gt_u64_e32 vcc, s[0:1], v[1:2]
	s_cbranch_vccnz .LBB25_4
; %bb.1:
	v_cmp_gt_u32_e32 vcc, s0, v0
	s_mov_b64 s[4:5], 0
	s_mov_b64 s[0:1], 0
                                        ; implicit-def: $vgpr1_vgpr2
	s_and_saveexec_b64 s[6:7], vcc
; %bb.2:
	s_lshl_b64 s[12:13], s[2:3], 3
	s_add_u32 s12, s8, s12
	s_addc_u32 s13, s9, s13
	v_lshlrev_b32_e32 v1, 3, v0
	v_mov_b32_e32 v2, s13
	v_add_co_u32_e32 v1, vcc, s12, v1
	s_mov_b64 s[0:1], exec
	v_addc_co_u32_e32 v2, vcc, 0, v2, vcc
; %bb.3:
	s_or_b64 exec, exec, s[6:7]
	s_and_b64 vcc, exec, s[4:5]
	s_cbranch_vccnz .LBB25_5
	s_branch .LBB25_6
.LBB25_4:
	s_mov_b64 s[0:1], 0
                                        ; implicit-def: $vgpr1_vgpr2
	s_cbranch_execz .LBB25_6
.LBB25_5:
	s_lshl_b64 s[2:3], s[2:3], 3
	s_add_u32 s2, s8, s2
	s_addc_u32 s3, s9, s3
	v_lshlrev_b32_e32 v0, 3, v0
	v_mov_b32_e32 v2, s3
	v_add_co_u32_e32 v1, vcc, s2, v0
	v_addc_co_u32_e32 v2, vcc, 0, v2, vcc
	s_or_b64 s[0:1], s[0:1], exec
.LBB25_6:
	s_and_saveexec_b64 s[2:3], s[0:1]
	s_cbranch_execnz .LBB25_8
; %bb.7:
	s_endpgm
.LBB25_8:
	flat_load_dwordx2 v[0:1], v[1:2]
	v_mov_b32_e32 v3, s11
	v_mov_b32_e32 v2, 0
	s_waitcnt vmcnt(0) lgkmcnt(0)
	v_cvt_i32_f64_e32 v0, v[0:1]
	v_ashrrev_i32_e32 v1, 31, v0
	v_lshlrev_b64 v[0:1], 3, v[0:1]
	v_add_co_u32_e32 v0, vcc, s10, v0
	v_addc_co_u32_e32 v1, vcc, v3, v1, vcc
	v_mov_b32_e32 v3, 0x3ff00000
	global_store_dwordx2 v[0:1], v[2:3], off
	s_endpgm
	.section	.rodata,"a",@progbits
	.p2align	6, 0x0
	.amdhsa_kernel _ZN6thrust23THRUST_200600_302600_NS11hip_rocprim14__parallel_for6kernelILj256ENS1_10for_each_fINS0_6detail15normal_iteratorINS0_10device_ptrIdEEEENS5_16wrapped_functionI21mark_present_for_eachIdEvEEEEmLj1EEEvT0_T1_SG_
		.amdhsa_group_segment_fixed_size 0
		.amdhsa_private_segment_fixed_size 0
		.amdhsa_kernarg_size 32
		.amdhsa_user_sgpr_count 6
		.amdhsa_user_sgpr_private_segment_buffer 1
		.amdhsa_user_sgpr_dispatch_ptr 0
		.amdhsa_user_sgpr_queue_ptr 0
		.amdhsa_user_sgpr_kernarg_segment_ptr 1
		.amdhsa_user_sgpr_dispatch_id 0
		.amdhsa_user_sgpr_flat_scratch_init 0
		.amdhsa_user_sgpr_private_segment_size 0
		.amdhsa_uses_dynamic_stack 0
		.amdhsa_system_sgpr_private_segment_wavefront_offset 0
		.amdhsa_system_sgpr_workgroup_id_x 1
		.amdhsa_system_sgpr_workgroup_id_y 0
		.amdhsa_system_sgpr_workgroup_id_z 0
		.amdhsa_system_sgpr_workgroup_info 0
		.amdhsa_system_vgpr_workitem_id 0
		.amdhsa_next_free_vgpr 4
		.amdhsa_next_free_sgpr 16
		.amdhsa_reserve_vcc 1
		.amdhsa_reserve_flat_scratch 0
		.amdhsa_float_round_mode_32 0
		.amdhsa_float_round_mode_16_64 0
		.amdhsa_float_denorm_mode_32 3
		.amdhsa_float_denorm_mode_16_64 3
		.amdhsa_dx10_clamp 1
		.amdhsa_ieee_mode 1
		.amdhsa_fp16_overflow 0
		.amdhsa_exception_fp_ieee_invalid_op 0
		.amdhsa_exception_fp_denorm_src 0
		.amdhsa_exception_fp_ieee_div_zero 0
		.amdhsa_exception_fp_ieee_overflow 0
		.amdhsa_exception_fp_ieee_underflow 0
		.amdhsa_exception_fp_ieee_inexact 0
		.amdhsa_exception_int_div_zero 0
	.end_amdhsa_kernel
	.section	.text._ZN6thrust23THRUST_200600_302600_NS11hip_rocprim14__parallel_for6kernelILj256ENS1_10for_each_fINS0_6detail15normal_iteratorINS0_10device_ptrIdEEEENS5_16wrapped_functionI21mark_present_for_eachIdEvEEEEmLj1EEEvT0_T1_SG_,"axG",@progbits,_ZN6thrust23THRUST_200600_302600_NS11hip_rocprim14__parallel_for6kernelILj256ENS1_10for_each_fINS0_6detail15normal_iteratorINS0_10device_ptrIdEEEENS5_16wrapped_functionI21mark_present_for_eachIdEvEEEEmLj1EEEvT0_T1_SG_,comdat
.Lfunc_end25:
	.size	_ZN6thrust23THRUST_200600_302600_NS11hip_rocprim14__parallel_for6kernelILj256ENS1_10for_each_fINS0_6detail15normal_iteratorINS0_10device_ptrIdEEEENS5_16wrapped_functionI21mark_present_for_eachIdEvEEEEmLj1EEEvT0_T1_SG_, .Lfunc_end25-_ZN6thrust23THRUST_200600_302600_NS11hip_rocprim14__parallel_for6kernelILj256ENS1_10for_each_fINS0_6detail15normal_iteratorINS0_10device_ptrIdEEEENS5_16wrapped_functionI21mark_present_for_eachIdEvEEEEmLj1EEEvT0_T1_SG_
                                        ; -- End function
	.set _ZN6thrust23THRUST_200600_302600_NS11hip_rocprim14__parallel_for6kernelILj256ENS1_10for_each_fINS0_6detail15normal_iteratorINS0_10device_ptrIdEEEENS5_16wrapped_functionI21mark_present_for_eachIdEvEEEEmLj1EEEvT0_T1_SG_.num_vgpr, 4
	.set _ZN6thrust23THRUST_200600_302600_NS11hip_rocprim14__parallel_for6kernelILj256ENS1_10for_each_fINS0_6detail15normal_iteratorINS0_10device_ptrIdEEEENS5_16wrapped_functionI21mark_present_for_eachIdEvEEEEmLj1EEEvT0_T1_SG_.num_agpr, 0
	.set _ZN6thrust23THRUST_200600_302600_NS11hip_rocprim14__parallel_for6kernelILj256ENS1_10for_each_fINS0_6detail15normal_iteratorINS0_10device_ptrIdEEEENS5_16wrapped_functionI21mark_present_for_eachIdEvEEEEmLj1EEEvT0_T1_SG_.numbered_sgpr, 16
	.set _ZN6thrust23THRUST_200600_302600_NS11hip_rocprim14__parallel_for6kernelILj256ENS1_10for_each_fINS0_6detail15normal_iteratorINS0_10device_ptrIdEEEENS5_16wrapped_functionI21mark_present_for_eachIdEvEEEEmLj1EEEvT0_T1_SG_.num_named_barrier, 0
	.set _ZN6thrust23THRUST_200600_302600_NS11hip_rocprim14__parallel_for6kernelILj256ENS1_10for_each_fINS0_6detail15normal_iteratorINS0_10device_ptrIdEEEENS5_16wrapped_functionI21mark_present_for_eachIdEvEEEEmLj1EEEvT0_T1_SG_.private_seg_size, 0
	.set _ZN6thrust23THRUST_200600_302600_NS11hip_rocprim14__parallel_for6kernelILj256ENS1_10for_each_fINS0_6detail15normal_iteratorINS0_10device_ptrIdEEEENS5_16wrapped_functionI21mark_present_for_eachIdEvEEEEmLj1EEEvT0_T1_SG_.uses_vcc, 1
	.set _ZN6thrust23THRUST_200600_302600_NS11hip_rocprim14__parallel_for6kernelILj256ENS1_10for_each_fINS0_6detail15normal_iteratorINS0_10device_ptrIdEEEENS5_16wrapped_functionI21mark_present_for_eachIdEvEEEEmLj1EEEvT0_T1_SG_.uses_flat_scratch, 0
	.set _ZN6thrust23THRUST_200600_302600_NS11hip_rocprim14__parallel_for6kernelILj256ENS1_10for_each_fINS0_6detail15normal_iteratorINS0_10device_ptrIdEEEENS5_16wrapped_functionI21mark_present_for_eachIdEvEEEEmLj1EEEvT0_T1_SG_.has_dyn_sized_stack, 0
	.set _ZN6thrust23THRUST_200600_302600_NS11hip_rocprim14__parallel_for6kernelILj256ENS1_10for_each_fINS0_6detail15normal_iteratorINS0_10device_ptrIdEEEENS5_16wrapped_functionI21mark_present_for_eachIdEvEEEEmLj1EEEvT0_T1_SG_.has_recursion, 0
	.set _ZN6thrust23THRUST_200600_302600_NS11hip_rocprim14__parallel_for6kernelILj256ENS1_10for_each_fINS0_6detail15normal_iteratorINS0_10device_ptrIdEEEENS5_16wrapped_functionI21mark_present_for_eachIdEvEEEEmLj1EEEvT0_T1_SG_.has_indirect_call, 0
	.section	.AMDGPU.csdata,"",@progbits
; Kernel info:
; codeLenInByte = 232
; TotalNumSgprs: 20
; NumVgprs: 4
; ScratchSize: 0
; MemoryBound: 0
; FloatMode: 240
; IeeeMode: 1
; LDSByteSize: 0 bytes/workgroup (compile time only)
; SGPRBlocks: 2
; VGPRBlocks: 0
; NumSGPRsForWavesPerEU: 20
; NumVGPRsForWavesPerEU: 4
; Occupancy: 10
; WaveLimiterHint : 1
; COMPUTE_PGM_RSRC2:SCRATCH_EN: 0
; COMPUTE_PGM_RSRC2:USER_SGPR: 6
; COMPUTE_PGM_RSRC2:TRAP_HANDLER: 0
; COMPUTE_PGM_RSRC2:TGID_X_EN: 1
; COMPUTE_PGM_RSRC2:TGID_Y_EN: 0
; COMPUTE_PGM_RSRC2:TGID_Z_EN: 0
; COMPUTE_PGM_RSRC2:TIDIG_COMP_CNT: 0
	.section	.text._ZN6thrust23THRUST_200600_302600_NS11hip_rocprim14__parallel_for6kernelILj256ENS1_10for_each_fINS0_6detail15normal_iteratorINS0_10device_ptrIfEEEENS5_16wrapped_functionI21mark_present_for_eachIfEvEEEEmLj1EEEvT0_T1_SG_,"axG",@progbits,_ZN6thrust23THRUST_200600_302600_NS11hip_rocprim14__parallel_for6kernelILj256ENS1_10for_each_fINS0_6detail15normal_iteratorINS0_10device_ptrIfEEEENS5_16wrapped_functionI21mark_present_for_eachIfEvEEEEmLj1EEEvT0_T1_SG_,comdat
	.protected	_ZN6thrust23THRUST_200600_302600_NS11hip_rocprim14__parallel_for6kernelILj256ENS1_10for_each_fINS0_6detail15normal_iteratorINS0_10device_ptrIfEEEENS5_16wrapped_functionI21mark_present_for_eachIfEvEEEEmLj1EEEvT0_T1_SG_ ; -- Begin function _ZN6thrust23THRUST_200600_302600_NS11hip_rocprim14__parallel_for6kernelILj256ENS1_10for_each_fINS0_6detail15normal_iteratorINS0_10device_ptrIfEEEENS5_16wrapped_functionI21mark_present_for_eachIfEvEEEEmLj1EEEvT0_T1_SG_
	.globl	_ZN6thrust23THRUST_200600_302600_NS11hip_rocprim14__parallel_for6kernelILj256ENS1_10for_each_fINS0_6detail15normal_iteratorINS0_10device_ptrIfEEEENS5_16wrapped_functionI21mark_present_for_eachIfEvEEEEmLj1EEEvT0_T1_SG_
	.p2align	8
	.type	_ZN6thrust23THRUST_200600_302600_NS11hip_rocprim14__parallel_for6kernelILj256ENS1_10for_each_fINS0_6detail15normal_iteratorINS0_10device_ptrIfEEEENS5_16wrapped_functionI21mark_present_for_eachIfEvEEEEmLj1EEEvT0_T1_SG_,@function
_ZN6thrust23THRUST_200600_302600_NS11hip_rocprim14__parallel_for6kernelILj256ENS1_10for_each_fINS0_6detail15normal_iteratorINS0_10device_ptrIfEEEENS5_16wrapped_functionI21mark_present_for_eachIfEvEEEEmLj1EEEvT0_T1_SG_: ; @_ZN6thrust23THRUST_200600_302600_NS11hip_rocprim14__parallel_for6kernelILj256ENS1_10for_each_fINS0_6detail15normal_iteratorINS0_10device_ptrIfEEEENS5_16wrapped_functionI21mark_present_for_eachIfEvEEEEmLj1EEEvT0_T1_SG_
; %bb.0:
	s_load_dwordx8 s[8:15], s[4:5], 0x0
	s_lshl_b32 s0, s6, 8
	v_mov_b32_e32 v1, 0xff
	v_mov_b32_e32 v2, 0
	s_waitcnt lgkmcnt(0)
	s_add_u32 s2, s14, s0
	s_addc_u32 s3, s15, 0
	s_sub_u32 s0, s12, s2
	s_subb_u32 s1, s13, s3
	v_cmp_gt_u64_e32 vcc, s[0:1], v[1:2]
	s_cbranch_vccnz .LBB26_4
; %bb.1:
	v_cmp_gt_u32_e32 vcc, s0, v0
	s_mov_b64 s[4:5], 0
	s_mov_b64 s[0:1], 0
                                        ; implicit-def: $vgpr1_vgpr2
	s_and_saveexec_b64 s[6:7], vcc
; %bb.2:
	s_lshl_b64 s[12:13], s[2:3], 2
	s_add_u32 s12, s8, s12
	s_addc_u32 s13, s9, s13
	v_lshlrev_b32_e32 v1, 2, v0
	v_mov_b32_e32 v2, s13
	v_add_co_u32_e32 v1, vcc, s12, v1
	s_mov_b64 s[0:1], exec
	v_addc_co_u32_e32 v2, vcc, 0, v2, vcc
; %bb.3:
	s_or_b64 exec, exec, s[6:7]
	s_and_b64 vcc, exec, s[4:5]
	s_cbranch_vccnz .LBB26_5
	s_branch .LBB26_6
.LBB26_4:
	s_mov_b64 s[0:1], 0
                                        ; implicit-def: $vgpr1_vgpr2
	s_cbranch_execz .LBB26_6
.LBB26_5:
	s_lshl_b64 s[2:3], s[2:3], 2
	s_add_u32 s2, s8, s2
	s_addc_u32 s3, s9, s3
	v_lshlrev_b32_e32 v0, 2, v0
	v_mov_b32_e32 v2, s3
	v_add_co_u32_e32 v1, vcc, s2, v0
	v_addc_co_u32_e32 v2, vcc, 0, v2, vcc
	s_or_b64 s[0:1], s[0:1], exec
.LBB26_6:
	s_and_saveexec_b64 s[2:3], s[0:1]
	s_cbranch_execnz .LBB26_8
; %bb.7:
	s_endpgm
.LBB26_8:
	flat_load_dword v0, v[1:2]
	v_mov_b32_e32 v2, s11
	s_waitcnt vmcnt(0) lgkmcnt(0)
	v_cvt_i32_f32_e32 v0, v0
	v_ashrrev_i32_e32 v1, 31, v0
	v_lshlrev_b64 v[0:1], 2, v[0:1]
	v_add_co_u32_e32 v0, vcc, s10, v0
	v_addc_co_u32_e32 v1, vcc, v2, v1, vcc
	v_mov_b32_e32 v2, 1.0
	global_store_dword v[0:1], v2, off
	s_endpgm
	.section	.rodata,"a",@progbits
	.p2align	6, 0x0
	.amdhsa_kernel _ZN6thrust23THRUST_200600_302600_NS11hip_rocprim14__parallel_for6kernelILj256ENS1_10for_each_fINS0_6detail15normal_iteratorINS0_10device_ptrIfEEEENS5_16wrapped_functionI21mark_present_for_eachIfEvEEEEmLj1EEEvT0_T1_SG_
		.amdhsa_group_segment_fixed_size 0
		.amdhsa_private_segment_fixed_size 0
		.amdhsa_kernarg_size 32
		.amdhsa_user_sgpr_count 6
		.amdhsa_user_sgpr_private_segment_buffer 1
		.amdhsa_user_sgpr_dispatch_ptr 0
		.amdhsa_user_sgpr_queue_ptr 0
		.amdhsa_user_sgpr_kernarg_segment_ptr 1
		.amdhsa_user_sgpr_dispatch_id 0
		.amdhsa_user_sgpr_flat_scratch_init 0
		.amdhsa_user_sgpr_private_segment_size 0
		.amdhsa_uses_dynamic_stack 0
		.amdhsa_system_sgpr_private_segment_wavefront_offset 0
		.amdhsa_system_sgpr_workgroup_id_x 1
		.amdhsa_system_sgpr_workgroup_id_y 0
		.amdhsa_system_sgpr_workgroup_id_z 0
		.amdhsa_system_sgpr_workgroup_info 0
		.amdhsa_system_vgpr_workitem_id 0
		.amdhsa_next_free_vgpr 3
		.amdhsa_next_free_sgpr 16
		.amdhsa_reserve_vcc 1
		.amdhsa_reserve_flat_scratch 0
		.amdhsa_float_round_mode_32 0
		.amdhsa_float_round_mode_16_64 0
		.amdhsa_float_denorm_mode_32 3
		.amdhsa_float_denorm_mode_16_64 3
		.amdhsa_dx10_clamp 1
		.amdhsa_ieee_mode 1
		.amdhsa_fp16_overflow 0
		.amdhsa_exception_fp_ieee_invalid_op 0
		.amdhsa_exception_fp_denorm_src 0
		.amdhsa_exception_fp_ieee_div_zero 0
		.amdhsa_exception_fp_ieee_overflow 0
		.amdhsa_exception_fp_ieee_underflow 0
		.amdhsa_exception_fp_ieee_inexact 0
		.amdhsa_exception_int_div_zero 0
	.end_amdhsa_kernel
	.section	.text._ZN6thrust23THRUST_200600_302600_NS11hip_rocprim14__parallel_for6kernelILj256ENS1_10for_each_fINS0_6detail15normal_iteratorINS0_10device_ptrIfEEEENS5_16wrapped_functionI21mark_present_for_eachIfEvEEEEmLj1EEEvT0_T1_SG_,"axG",@progbits,_ZN6thrust23THRUST_200600_302600_NS11hip_rocprim14__parallel_for6kernelILj256ENS1_10for_each_fINS0_6detail15normal_iteratorINS0_10device_ptrIfEEEENS5_16wrapped_functionI21mark_present_for_eachIfEvEEEEmLj1EEEvT0_T1_SG_,comdat
.Lfunc_end26:
	.size	_ZN6thrust23THRUST_200600_302600_NS11hip_rocprim14__parallel_for6kernelILj256ENS1_10for_each_fINS0_6detail15normal_iteratorINS0_10device_ptrIfEEEENS5_16wrapped_functionI21mark_present_for_eachIfEvEEEEmLj1EEEvT0_T1_SG_, .Lfunc_end26-_ZN6thrust23THRUST_200600_302600_NS11hip_rocprim14__parallel_for6kernelILj256ENS1_10for_each_fINS0_6detail15normal_iteratorINS0_10device_ptrIfEEEENS5_16wrapped_functionI21mark_present_for_eachIfEvEEEEmLj1EEEvT0_T1_SG_
                                        ; -- End function
	.set _ZN6thrust23THRUST_200600_302600_NS11hip_rocprim14__parallel_for6kernelILj256ENS1_10for_each_fINS0_6detail15normal_iteratorINS0_10device_ptrIfEEEENS5_16wrapped_functionI21mark_present_for_eachIfEvEEEEmLj1EEEvT0_T1_SG_.num_vgpr, 3
	.set _ZN6thrust23THRUST_200600_302600_NS11hip_rocprim14__parallel_for6kernelILj256ENS1_10for_each_fINS0_6detail15normal_iteratorINS0_10device_ptrIfEEEENS5_16wrapped_functionI21mark_present_for_eachIfEvEEEEmLj1EEEvT0_T1_SG_.num_agpr, 0
	.set _ZN6thrust23THRUST_200600_302600_NS11hip_rocprim14__parallel_for6kernelILj256ENS1_10for_each_fINS0_6detail15normal_iteratorINS0_10device_ptrIfEEEENS5_16wrapped_functionI21mark_present_for_eachIfEvEEEEmLj1EEEvT0_T1_SG_.numbered_sgpr, 16
	.set _ZN6thrust23THRUST_200600_302600_NS11hip_rocprim14__parallel_for6kernelILj256ENS1_10for_each_fINS0_6detail15normal_iteratorINS0_10device_ptrIfEEEENS5_16wrapped_functionI21mark_present_for_eachIfEvEEEEmLj1EEEvT0_T1_SG_.num_named_barrier, 0
	.set _ZN6thrust23THRUST_200600_302600_NS11hip_rocprim14__parallel_for6kernelILj256ENS1_10for_each_fINS0_6detail15normal_iteratorINS0_10device_ptrIfEEEENS5_16wrapped_functionI21mark_present_for_eachIfEvEEEEmLj1EEEvT0_T1_SG_.private_seg_size, 0
	.set _ZN6thrust23THRUST_200600_302600_NS11hip_rocprim14__parallel_for6kernelILj256ENS1_10for_each_fINS0_6detail15normal_iteratorINS0_10device_ptrIfEEEENS5_16wrapped_functionI21mark_present_for_eachIfEvEEEEmLj1EEEvT0_T1_SG_.uses_vcc, 1
	.set _ZN6thrust23THRUST_200600_302600_NS11hip_rocprim14__parallel_for6kernelILj256ENS1_10for_each_fINS0_6detail15normal_iteratorINS0_10device_ptrIfEEEENS5_16wrapped_functionI21mark_present_for_eachIfEvEEEEmLj1EEEvT0_T1_SG_.uses_flat_scratch, 0
	.set _ZN6thrust23THRUST_200600_302600_NS11hip_rocprim14__parallel_for6kernelILj256ENS1_10for_each_fINS0_6detail15normal_iteratorINS0_10device_ptrIfEEEENS5_16wrapped_functionI21mark_present_for_eachIfEvEEEEmLj1EEEvT0_T1_SG_.has_dyn_sized_stack, 0
	.set _ZN6thrust23THRUST_200600_302600_NS11hip_rocprim14__parallel_for6kernelILj256ENS1_10for_each_fINS0_6detail15normal_iteratorINS0_10device_ptrIfEEEENS5_16wrapped_functionI21mark_present_for_eachIfEvEEEEmLj1EEEvT0_T1_SG_.has_recursion, 0
	.set _ZN6thrust23THRUST_200600_302600_NS11hip_rocprim14__parallel_for6kernelILj256ENS1_10for_each_fINS0_6detail15normal_iteratorINS0_10device_ptrIfEEEENS5_16wrapped_functionI21mark_present_for_eachIfEvEEEEmLj1EEEvT0_T1_SG_.has_indirect_call, 0
	.section	.AMDGPU.csdata,"",@progbits
; Kernel info:
; codeLenInByte = 224
; TotalNumSgprs: 20
; NumVgprs: 3
; ScratchSize: 0
; MemoryBound: 0
; FloatMode: 240
; IeeeMode: 1
; LDSByteSize: 0 bytes/workgroup (compile time only)
; SGPRBlocks: 2
; VGPRBlocks: 0
; NumSGPRsForWavesPerEU: 20
; NumVGPRsForWavesPerEU: 3
; Occupancy: 10
; WaveLimiterHint : 1
; COMPUTE_PGM_RSRC2:SCRATCH_EN: 0
; COMPUTE_PGM_RSRC2:USER_SGPR: 6
; COMPUTE_PGM_RSRC2:TRAP_HANDLER: 0
; COMPUTE_PGM_RSRC2:TGID_X_EN: 1
; COMPUTE_PGM_RSRC2:TGID_Y_EN: 0
; COMPUTE_PGM_RSRC2:TGID_Z_EN: 0
; COMPUTE_PGM_RSRC2:TIDIG_COMP_CNT: 0
	.section	.text._ZN6thrust23THRUST_200600_302600_NS11hip_rocprim14__parallel_for6kernelILj256ENS1_10for_each_fINS0_6detail15normal_iteratorINS0_10device_ptrIyEEEENS5_16wrapped_functionI21mark_present_for_eachIyEvEEEEmLj1EEEvT0_T1_SG_,"axG",@progbits,_ZN6thrust23THRUST_200600_302600_NS11hip_rocprim14__parallel_for6kernelILj256ENS1_10for_each_fINS0_6detail15normal_iteratorINS0_10device_ptrIyEEEENS5_16wrapped_functionI21mark_present_for_eachIyEvEEEEmLj1EEEvT0_T1_SG_,comdat
	.protected	_ZN6thrust23THRUST_200600_302600_NS11hip_rocprim14__parallel_for6kernelILj256ENS1_10for_each_fINS0_6detail15normal_iteratorINS0_10device_ptrIyEEEENS5_16wrapped_functionI21mark_present_for_eachIyEvEEEEmLj1EEEvT0_T1_SG_ ; -- Begin function _ZN6thrust23THRUST_200600_302600_NS11hip_rocprim14__parallel_for6kernelILj256ENS1_10for_each_fINS0_6detail15normal_iteratorINS0_10device_ptrIyEEEENS5_16wrapped_functionI21mark_present_for_eachIyEvEEEEmLj1EEEvT0_T1_SG_
	.globl	_ZN6thrust23THRUST_200600_302600_NS11hip_rocprim14__parallel_for6kernelILj256ENS1_10for_each_fINS0_6detail15normal_iteratorINS0_10device_ptrIyEEEENS5_16wrapped_functionI21mark_present_for_eachIyEvEEEEmLj1EEEvT0_T1_SG_
	.p2align	8
	.type	_ZN6thrust23THRUST_200600_302600_NS11hip_rocprim14__parallel_for6kernelILj256ENS1_10for_each_fINS0_6detail15normal_iteratorINS0_10device_ptrIyEEEENS5_16wrapped_functionI21mark_present_for_eachIyEvEEEEmLj1EEEvT0_T1_SG_,@function
_ZN6thrust23THRUST_200600_302600_NS11hip_rocprim14__parallel_for6kernelILj256ENS1_10for_each_fINS0_6detail15normal_iteratorINS0_10device_ptrIyEEEENS5_16wrapped_functionI21mark_present_for_eachIyEvEEEEmLj1EEEvT0_T1_SG_: ; @_ZN6thrust23THRUST_200600_302600_NS11hip_rocprim14__parallel_for6kernelILj256ENS1_10for_each_fINS0_6detail15normal_iteratorINS0_10device_ptrIyEEEENS5_16wrapped_functionI21mark_present_for_eachIyEvEEEEmLj1EEEvT0_T1_SG_
; %bb.0:
	s_load_dwordx8 s[8:15], s[4:5], 0x0
	s_lshl_b32 s0, s6, 8
	v_mov_b32_e32 v1, 0xff
	v_mov_b32_e32 v2, 0
	s_waitcnt lgkmcnt(0)
	s_add_u32 s2, s14, s0
	s_addc_u32 s3, s15, 0
	s_sub_u32 s0, s12, s2
	s_subb_u32 s1, s13, s3
	v_cmp_gt_u64_e32 vcc, s[0:1], v[1:2]
	s_cbranch_vccnz .LBB27_4
; %bb.1:
	v_cmp_gt_u32_e32 vcc, s0, v0
	s_mov_b64 s[4:5], 0
	s_mov_b64 s[0:1], 0
                                        ; implicit-def: $vgpr1_vgpr2
	s_and_saveexec_b64 s[6:7], vcc
; %bb.2:
	s_lshl_b64 s[12:13], s[2:3], 3
	s_add_u32 s12, s8, s12
	s_addc_u32 s13, s9, s13
	v_lshlrev_b32_e32 v1, 3, v0
	v_mov_b32_e32 v2, s13
	v_add_co_u32_e32 v1, vcc, s12, v1
	s_mov_b64 s[0:1], exec
	v_addc_co_u32_e32 v2, vcc, 0, v2, vcc
; %bb.3:
	s_or_b64 exec, exec, s[6:7]
	s_and_b64 vcc, exec, s[4:5]
	s_cbranch_vccnz .LBB27_5
	s_branch .LBB27_6
.LBB27_4:
	s_mov_b64 s[0:1], 0
                                        ; implicit-def: $vgpr1_vgpr2
	s_cbranch_execz .LBB27_6
.LBB27_5:
	s_lshl_b64 s[2:3], s[2:3], 3
	s_add_u32 s2, s8, s2
	s_addc_u32 s3, s9, s3
	v_lshlrev_b32_e32 v0, 3, v0
	v_mov_b32_e32 v2, s3
	v_add_co_u32_e32 v1, vcc, s2, v0
	v_addc_co_u32_e32 v2, vcc, 0, v2, vcc
	s_or_b64 s[0:1], s[0:1], exec
.LBB27_6:
	s_and_saveexec_b64 s[2:3], s[0:1]
	s_cbranch_execnz .LBB27_8
; %bb.7:
	s_endpgm
.LBB27_8:
	flat_load_dword v1, v[1:2]
	v_mov_b32_e32 v0, 0
	v_mov_b32_e32 v6, s11
	;; [unrolled: 1-line block ×3, first 2 shown]
	s_waitcnt vmcnt(0) lgkmcnt(0)
	v_ashrrev_i64 v[3:4], 29, v[0:1]
	v_add_co_u32_e32 v5, vcc, s10, v3
	v_addc_co_u32_e32 v6, vcc, v6, v4, vcc
	v_mov_b32_e32 v3, v0
	global_store_dwordx2 v[5:6], v[2:3], off
	s_endpgm
	.section	.rodata,"a",@progbits
	.p2align	6, 0x0
	.amdhsa_kernel _ZN6thrust23THRUST_200600_302600_NS11hip_rocprim14__parallel_for6kernelILj256ENS1_10for_each_fINS0_6detail15normal_iteratorINS0_10device_ptrIyEEEENS5_16wrapped_functionI21mark_present_for_eachIyEvEEEEmLj1EEEvT0_T1_SG_
		.amdhsa_group_segment_fixed_size 0
		.amdhsa_private_segment_fixed_size 0
		.amdhsa_kernarg_size 32
		.amdhsa_user_sgpr_count 6
		.amdhsa_user_sgpr_private_segment_buffer 1
		.amdhsa_user_sgpr_dispatch_ptr 0
		.amdhsa_user_sgpr_queue_ptr 0
		.amdhsa_user_sgpr_kernarg_segment_ptr 1
		.amdhsa_user_sgpr_dispatch_id 0
		.amdhsa_user_sgpr_flat_scratch_init 0
		.amdhsa_user_sgpr_private_segment_size 0
		.amdhsa_uses_dynamic_stack 0
		.amdhsa_system_sgpr_private_segment_wavefront_offset 0
		.amdhsa_system_sgpr_workgroup_id_x 1
		.amdhsa_system_sgpr_workgroup_id_y 0
		.amdhsa_system_sgpr_workgroup_id_z 0
		.amdhsa_system_sgpr_workgroup_info 0
		.amdhsa_system_vgpr_workitem_id 0
		.amdhsa_next_free_vgpr 7
		.amdhsa_next_free_sgpr 16
		.amdhsa_reserve_vcc 1
		.amdhsa_reserve_flat_scratch 0
		.amdhsa_float_round_mode_32 0
		.amdhsa_float_round_mode_16_64 0
		.amdhsa_float_denorm_mode_32 3
		.amdhsa_float_denorm_mode_16_64 3
		.amdhsa_dx10_clamp 1
		.amdhsa_ieee_mode 1
		.amdhsa_fp16_overflow 0
		.amdhsa_exception_fp_ieee_invalid_op 0
		.amdhsa_exception_fp_denorm_src 0
		.amdhsa_exception_fp_ieee_div_zero 0
		.amdhsa_exception_fp_ieee_overflow 0
		.amdhsa_exception_fp_ieee_underflow 0
		.amdhsa_exception_fp_ieee_inexact 0
		.amdhsa_exception_int_div_zero 0
	.end_amdhsa_kernel
	.section	.text._ZN6thrust23THRUST_200600_302600_NS11hip_rocprim14__parallel_for6kernelILj256ENS1_10for_each_fINS0_6detail15normal_iteratorINS0_10device_ptrIyEEEENS5_16wrapped_functionI21mark_present_for_eachIyEvEEEEmLj1EEEvT0_T1_SG_,"axG",@progbits,_ZN6thrust23THRUST_200600_302600_NS11hip_rocprim14__parallel_for6kernelILj256ENS1_10for_each_fINS0_6detail15normal_iteratorINS0_10device_ptrIyEEEENS5_16wrapped_functionI21mark_present_for_eachIyEvEEEEmLj1EEEvT0_T1_SG_,comdat
.Lfunc_end27:
	.size	_ZN6thrust23THRUST_200600_302600_NS11hip_rocprim14__parallel_for6kernelILj256ENS1_10for_each_fINS0_6detail15normal_iteratorINS0_10device_ptrIyEEEENS5_16wrapped_functionI21mark_present_for_eachIyEvEEEEmLj1EEEvT0_T1_SG_, .Lfunc_end27-_ZN6thrust23THRUST_200600_302600_NS11hip_rocprim14__parallel_for6kernelILj256ENS1_10for_each_fINS0_6detail15normal_iteratorINS0_10device_ptrIyEEEENS5_16wrapped_functionI21mark_present_for_eachIyEvEEEEmLj1EEEvT0_T1_SG_
                                        ; -- End function
	.set _ZN6thrust23THRUST_200600_302600_NS11hip_rocprim14__parallel_for6kernelILj256ENS1_10for_each_fINS0_6detail15normal_iteratorINS0_10device_ptrIyEEEENS5_16wrapped_functionI21mark_present_for_eachIyEvEEEEmLj1EEEvT0_T1_SG_.num_vgpr, 7
	.set _ZN6thrust23THRUST_200600_302600_NS11hip_rocprim14__parallel_for6kernelILj256ENS1_10for_each_fINS0_6detail15normal_iteratorINS0_10device_ptrIyEEEENS5_16wrapped_functionI21mark_present_for_eachIyEvEEEEmLj1EEEvT0_T1_SG_.num_agpr, 0
	.set _ZN6thrust23THRUST_200600_302600_NS11hip_rocprim14__parallel_for6kernelILj256ENS1_10for_each_fINS0_6detail15normal_iteratorINS0_10device_ptrIyEEEENS5_16wrapped_functionI21mark_present_for_eachIyEvEEEEmLj1EEEvT0_T1_SG_.numbered_sgpr, 16
	.set _ZN6thrust23THRUST_200600_302600_NS11hip_rocprim14__parallel_for6kernelILj256ENS1_10for_each_fINS0_6detail15normal_iteratorINS0_10device_ptrIyEEEENS5_16wrapped_functionI21mark_present_for_eachIyEvEEEEmLj1EEEvT0_T1_SG_.num_named_barrier, 0
	.set _ZN6thrust23THRUST_200600_302600_NS11hip_rocprim14__parallel_for6kernelILj256ENS1_10for_each_fINS0_6detail15normal_iteratorINS0_10device_ptrIyEEEENS5_16wrapped_functionI21mark_present_for_eachIyEvEEEEmLj1EEEvT0_T1_SG_.private_seg_size, 0
	.set _ZN6thrust23THRUST_200600_302600_NS11hip_rocprim14__parallel_for6kernelILj256ENS1_10for_each_fINS0_6detail15normal_iteratorINS0_10device_ptrIyEEEENS5_16wrapped_functionI21mark_present_for_eachIyEvEEEEmLj1EEEvT0_T1_SG_.uses_vcc, 1
	.set _ZN6thrust23THRUST_200600_302600_NS11hip_rocprim14__parallel_for6kernelILj256ENS1_10for_each_fINS0_6detail15normal_iteratorINS0_10device_ptrIyEEEENS5_16wrapped_functionI21mark_present_for_eachIyEvEEEEmLj1EEEvT0_T1_SG_.uses_flat_scratch, 0
	.set _ZN6thrust23THRUST_200600_302600_NS11hip_rocprim14__parallel_for6kernelILj256ENS1_10for_each_fINS0_6detail15normal_iteratorINS0_10device_ptrIyEEEENS5_16wrapped_functionI21mark_present_for_eachIyEvEEEEmLj1EEEvT0_T1_SG_.has_dyn_sized_stack, 0
	.set _ZN6thrust23THRUST_200600_302600_NS11hip_rocprim14__parallel_for6kernelILj256ENS1_10for_each_fINS0_6detail15normal_iteratorINS0_10device_ptrIyEEEENS5_16wrapped_functionI21mark_present_for_eachIyEvEEEEmLj1EEEvT0_T1_SG_.has_recursion, 0
	.set _ZN6thrust23THRUST_200600_302600_NS11hip_rocprim14__parallel_for6kernelILj256ENS1_10for_each_fINS0_6detail15normal_iteratorINS0_10device_ptrIyEEEENS5_16wrapped_functionI21mark_present_for_eachIyEvEEEEmLj1EEEvT0_T1_SG_.has_indirect_call, 0
	.section	.AMDGPU.csdata,"",@progbits
; Kernel info:
; codeLenInByte = 224
; TotalNumSgprs: 20
; NumVgprs: 7
; ScratchSize: 0
; MemoryBound: 0
; FloatMode: 240
; IeeeMode: 1
; LDSByteSize: 0 bytes/workgroup (compile time only)
; SGPRBlocks: 2
; VGPRBlocks: 1
; NumSGPRsForWavesPerEU: 20
; NumVGPRsForWavesPerEU: 7
; Occupancy: 10
; WaveLimiterHint : 1
; COMPUTE_PGM_RSRC2:SCRATCH_EN: 0
; COMPUTE_PGM_RSRC2:USER_SGPR: 6
; COMPUTE_PGM_RSRC2:TRAP_HANDLER: 0
; COMPUTE_PGM_RSRC2:TGID_X_EN: 1
; COMPUTE_PGM_RSRC2:TGID_Y_EN: 0
; COMPUTE_PGM_RSRC2:TGID_Z_EN: 0
; COMPUTE_PGM_RSRC2:TIDIG_COMP_CNT: 0
	.section	.text._ZN6thrust23THRUST_200600_302600_NS11hip_rocprim14__parallel_for6kernelILj256ENS1_10for_each_fINS0_6detail15normal_iteratorINS0_10device_ptrIjEEEENS5_16wrapped_functionI21mark_present_for_eachIjEvEEEEmLj1EEEvT0_T1_SG_,"axG",@progbits,_ZN6thrust23THRUST_200600_302600_NS11hip_rocprim14__parallel_for6kernelILj256ENS1_10for_each_fINS0_6detail15normal_iteratorINS0_10device_ptrIjEEEENS5_16wrapped_functionI21mark_present_for_eachIjEvEEEEmLj1EEEvT0_T1_SG_,comdat
	.protected	_ZN6thrust23THRUST_200600_302600_NS11hip_rocprim14__parallel_for6kernelILj256ENS1_10for_each_fINS0_6detail15normal_iteratorINS0_10device_ptrIjEEEENS5_16wrapped_functionI21mark_present_for_eachIjEvEEEEmLj1EEEvT0_T1_SG_ ; -- Begin function _ZN6thrust23THRUST_200600_302600_NS11hip_rocprim14__parallel_for6kernelILj256ENS1_10for_each_fINS0_6detail15normal_iteratorINS0_10device_ptrIjEEEENS5_16wrapped_functionI21mark_present_for_eachIjEvEEEEmLj1EEEvT0_T1_SG_
	.globl	_ZN6thrust23THRUST_200600_302600_NS11hip_rocprim14__parallel_for6kernelILj256ENS1_10for_each_fINS0_6detail15normal_iteratorINS0_10device_ptrIjEEEENS5_16wrapped_functionI21mark_present_for_eachIjEvEEEEmLj1EEEvT0_T1_SG_
	.p2align	8
	.type	_ZN6thrust23THRUST_200600_302600_NS11hip_rocprim14__parallel_for6kernelILj256ENS1_10for_each_fINS0_6detail15normal_iteratorINS0_10device_ptrIjEEEENS5_16wrapped_functionI21mark_present_for_eachIjEvEEEEmLj1EEEvT0_T1_SG_,@function
_ZN6thrust23THRUST_200600_302600_NS11hip_rocprim14__parallel_for6kernelILj256ENS1_10for_each_fINS0_6detail15normal_iteratorINS0_10device_ptrIjEEEENS5_16wrapped_functionI21mark_present_for_eachIjEvEEEEmLj1EEEvT0_T1_SG_: ; @_ZN6thrust23THRUST_200600_302600_NS11hip_rocprim14__parallel_for6kernelILj256ENS1_10for_each_fINS0_6detail15normal_iteratorINS0_10device_ptrIjEEEENS5_16wrapped_functionI21mark_present_for_eachIjEvEEEEmLj1EEEvT0_T1_SG_
; %bb.0:
	s_load_dwordx8 s[8:15], s[4:5], 0x0
	s_lshl_b32 s0, s6, 8
	v_mov_b32_e32 v1, 0xff
	v_mov_b32_e32 v2, 0
	s_waitcnt lgkmcnt(0)
	s_add_u32 s2, s14, s0
	s_addc_u32 s3, s15, 0
	s_sub_u32 s0, s12, s2
	s_subb_u32 s1, s13, s3
	v_cmp_gt_u64_e32 vcc, s[0:1], v[1:2]
	s_cbranch_vccnz .LBB28_4
; %bb.1:
	v_cmp_gt_u32_e32 vcc, s0, v0
	s_mov_b64 s[4:5], 0
	s_mov_b64 s[0:1], 0
                                        ; implicit-def: $vgpr1_vgpr2
	s_and_saveexec_b64 s[6:7], vcc
; %bb.2:
	s_lshl_b64 s[12:13], s[2:3], 2
	s_add_u32 s12, s8, s12
	s_addc_u32 s13, s9, s13
	v_lshlrev_b32_e32 v1, 2, v0
	v_mov_b32_e32 v2, s13
	v_add_co_u32_e32 v1, vcc, s12, v1
	s_mov_b64 s[0:1], exec
	v_addc_co_u32_e32 v2, vcc, 0, v2, vcc
; %bb.3:
	s_or_b64 exec, exec, s[6:7]
	s_and_b64 vcc, exec, s[4:5]
	s_cbranch_vccnz .LBB28_5
	s_branch .LBB28_6
.LBB28_4:
	s_mov_b64 s[0:1], 0
                                        ; implicit-def: $vgpr1_vgpr2
	s_cbranch_execz .LBB28_6
.LBB28_5:
	s_lshl_b64 s[2:3], s[2:3], 2
	s_add_u32 s2, s8, s2
	s_addc_u32 s3, s9, s3
	v_lshlrev_b32_e32 v0, 2, v0
	v_mov_b32_e32 v2, s3
	v_add_co_u32_e32 v1, vcc, s2, v0
	v_addc_co_u32_e32 v2, vcc, 0, v2, vcc
	s_or_b64 s[0:1], s[0:1], exec
.LBB28_6:
	s_and_saveexec_b64 s[2:3], s[0:1]
	s_cbranch_execnz .LBB28_8
; %bb.7:
	s_endpgm
.LBB28_8:
	flat_load_dword v0, v[1:2]
	v_mov_b32_e32 v2, s11
	s_waitcnt vmcnt(0) lgkmcnt(0)
	v_ashrrev_i32_e32 v1, 31, v0
	v_lshlrev_b64 v[0:1], 2, v[0:1]
	v_add_co_u32_e32 v0, vcc, s10, v0
	v_addc_co_u32_e32 v1, vcc, v2, v1, vcc
	v_mov_b32_e32 v2, 1
	global_store_dword v[0:1], v2, off
	s_endpgm
	.section	.rodata,"a",@progbits
	.p2align	6, 0x0
	.amdhsa_kernel _ZN6thrust23THRUST_200600_302600_NS11hip_rocprim14__parallel_for6kernelILj256ENS1_10for_each_fINS0_6detail15normal_iteratorINS0_10device_ptrIjEEEENS5_16wrapped_functionI21mark_present_for_eachIjEvEEEEmLj1EEEvT0_T1_SG_
		.amdhsa_group_segment_fixed_size 0
		.amdhsa_private_segment_fixed_size 0
		.amdhsa_kernarg_size 32
		.amdhsa_user_sgpr_count 6
		.amdhsa_user_sgpr_private_segment_buffer 1
		.amdhsa_user_sgpr_dispatch_ptr 0
		.amdhsa_user_sgpr_queue_ptr 0
		.amdhsa_user_sgpr_kernarg_segment_ptr 1
		.amdhsa_user_sgpr_dispatch_id 0
		.amdhsa_user_sgpr_flat_scratch_init 0
		.amdhsa_user_sgpr_private_segment_size 0
		.amdhsa_uses_dynamic_stack 0
		.amdhsa_system_sgpr_private_segment_wavefront_offset 0
		.amdhsa_system_sgpr_workgroup_id_x 1
		.amdhsa_system_sgpr_workgroup_id_y 0
		.amdhsa_system_sgpr_workgroup_id_z 0
		.amdhsa_system_sgpr_workgroup_info 0
		.amdhsa_system_vgpr_workitem_id 0
		.amdhsa_next_free_vgpr 3
		.amdhsa_next_free_sgpr 16
		.amdhsa_reserve_vcc 1
		.amdhsa_reserve_flat_scratch 0
		.amdhsa_float_round_mode_32 0
		.amdhsa_float_round_mode_16_64 0
		.amdhsa_float_denorm_mode_32 3
		.amdhsa_float_denorm_mode_16_64 3
		.amdhsa_dx10_clamp 1
		.amdhsa_ieee_mode 1
		.amdhsa_fp16_overflow 0
		.amdhsa_exception_fp_ieee_invalid_op 0
		.amdhsa_exception_fp_denorm_src 0
		.amdhsa_exception_fp_ieee_div_zero 0
		.amdhsa_exception_fp_ieee_overflow 0
		.amdhsa_exception_fp_ieee_underflow 0
		.amdhsa_exception_fp_ieee_inexact 0
		.amdhsa_exception_int_div_zero 0
	.end_amdhsa_kernel
	.section	.text._ZN6thrust23THRUST_200600_302600_NS11hip_rocprim14__parallel_for6kernelILj256ENS1_10for_each_fINS0_6detail15normal_iteratorINS0_10device_ptrIjEEEENS5_16wrapped_functionI21mark_present_for_eachIjEvEEEEmLj1EEEvT0_T1_SG_,"axG",@progbits,_ZN6thrust23THRUST_200600_302600_NS11hip_rocprim14__parallel_for6kernelILj256ENS1_10for_each_fINS0_6detail15normal_iteratorINS0_10device_ptrIjEEEENS5_16wrapped_functionI21mark_present_for_eachIjEvEEEEmLj1EEEvT0_T1_SG_,comdat
.Lfunc_end28:
	.size	_ZN6thrust23THRUST_200600_302600_NS11hip_rocprim14__parallel_for6kernelILj256ENS1_10for_each_fINS0_6detail15normal_iteratorINS0_10device_ptrIjEEEENS5_16wrapped_functionI21mark_present_for_eachIjEvEEEEmLj1EEEvT0_T1_SG_, .Lfunc_end28-_ZN6thrust23THRUST_200600_302600_NS11hip_rocprim14__parallel_for6kernelILj256ENS1_10for_each_fINS0_6detail15normal_iteratorINS0_10device_ptrIjEEEENS5_16wrapped_functionI21mark_present_for_eachIjEvEEEEmLj1EEEvT0_T1_SG_
                                        ; -- End function
	.set _ZN6thrust23THRUST_200600_302600_NS11hip_rocprim14__parallel_for6kernelILj256ENS1_10for_each_fINS0_6detail15normal_iteratorINS0_10device_ptrIjEEEENS5_16wrapped_functionI21mark_present_for_eachIjEvEEEEmLj1EEEvT0_T1_SG_.num_vgpr, 3
	.set _ZN6thrust23THRUST_200600_302600_NS11hip_rocprim14__parallel_for6kernelILj256ENS1_10for_each_fINS0_6detail15normal_iteratorINS0_10device_ptrIjEEEENS5_16wrapped_functionI21mark_present_for_eachIjEvEEEEmLj1EEEvT0_T1_SG_.num_agpr, 0
	.set _ZN6thrust23THRUST_200600_302600_NS11hip_rocprim14__parallel_for6kernelILj256ENS1_10for_each_fINS0_6detail15normal_iteratorINS0_10device_ptrIjEEEENS5_16wrapped_functionI21mark_present_for_eachIjEvEEEEmLj1EEEvT0_T1_SG_.numbered_sgpr, 16
	.set _ZN6thrust23THRUST_200600_302600_NS11hip_rocprim14__parallel_for6kernelILj256ENS1_10for_each_fINS0_6detail15normal_iteratorINS0_10device_ptrIjEEEENS5_16wrapped_functionI21mark_present_for_eachIjEvEEEEmLj1EEEvT0_T1_SG_.num_named_barrier, 0
	.set _ZN6thrust23THRUST_200600_302600_NS11hip_rocprim14__parallel_for6kernelILj256ENS1_10for_each_fINS0_6detail15normal_iteratorINS0_10device_ptrIjEEEENS5_16wrapped_functionI21mark_present_for_eachIjEvEEEEmLj1EEEvT0_T1_SG_.private_seg_size, 0
	.set _ZN6thrust23THRUST_200600_302600_NS11hip_rocprim14__parallel_for6kernelILj256ENS1_10for_each_fINS0_6detail15normal_iteratorINS0_10device_ptrIjEEEENS5_16wrapped_functionI21mark_present_for_eachIjEvEEEEmLj1EEEvT0_T1_SG_.uses_vcc, 1
	.set _ZN6thrust23THRUST_200600_302600_NS11hip_rocprim14__parallel_for6kernelILj256ENS1_10for_each_fINS0_6detail15normal_iteratorINS0_10device_ptrIjEEEENS5_16wrapped_functionI21mark_present_for_eachIjEvEEEEmLj1EEEvT0_T1_SG_.uses_flat_scratch, 0
	.set _ZN6thrust23THRUST_200600_302600_NS11hip_rocprim14__parallel_for6kernelILj256ENS1_10for_each_fINS0_6detail15normal_iteratorINS0_10device_ptrIjEEEENS5_16wrapped_functionI21mark_present_for_eachIjEvEEEEmLj1EEEvT0_T1_SG_.has_dyn_sized_stack, 0
	.set _ZN6thrust23THRUST_200600_302600_NS11hip_rocprim14__parallel_for6kernelILj256ENS1_10for_each_fINS0_6detail15normal_iteratorINS0_10device_ptrIjEEEENS5_16wrapped_functionI21mark_present_for_eachIjEvEEEEmLj1EEEvT0_T1_SG_.has_recursion, 0
	.set _ZN6thrust23THRUST_200600_302600_NS11hip_rocprim14__parallel_for6kernelILj256ENS1_10for_each_fINS0_6detail15normal_iteratorINS0_10device_ptrIjEEEENS5_16wrapped_functionI21mark_present_for_eachIjEvEEEEmLj1EEEvT0_T1_SG_.has_indirect_call, 0
	.section	.AMDGPU.csdata,"",@progbits
; Kernel info:
; codeLenInByte = 220
; TotalNumSgprs: 20
; NumVgprs: 3
; ScratchSize: 0
; MemoryBound: 0
; FloatMode: 240
; IeeeMode: 1
; LDSByteSize: 0 bytes/workgroup (compile time only)
; SGPRBlocks: 2
; VGPRBlocks: 0
; NumSGPRsForWavesPerEU: 20
; NumVGPRsForWavesPerEU: 3
; Occupancy: 10
; WaveLimiterHint : 1
; COMPUTE_PGM_RSRC2:SCRATCH_EN: 0
; COMPUTE_PGM_RSRC2:USER_SGPR: 6
; COMPUTE_PGM_RSRC2:TRAP_HANDLER: 0
; COMPUTE_PGM_RSRC2:TGID_X_EN: 1
; COMPUTE_PGM_RSRC2:TGID_Y_EN: 0
; COMPUTE_PGM_RSRC2:TGID_Z_EN: 0
; COMPUTE_PGM_RSRC2:TIDIG_COMP_CNT: 0
	.section	.text._ZN6thrust23THRUST_200600_302600_NS11hip_rocprim14__parallel_for6kernelILj256ENS1_10for_each_fINS0_6detail15normal_iteratorINS0_10device_ptrItEEEENS5_16wrapped_functionI21mark_present_for_eachItEvEEEEmLj1EEEvT0_T1_SG_,"axG",@progbits,_ZN6thrust23THRUST_200600_302600_NS11hip_rocprim14__parallel_for6kernelILj256ENS1_10for_each_fINS0_6detail15normal_iteratorINS0_10device_ptrItEEEENS5_16wrapped_functionI21mark_present_for_eachItEvEEEEmLj1EEEvT0_T1_SG_,comdat
	.protected	_ZN6thrust23THRUST_200600_302600_NS11hip_rocprim14__parallel_for6kernelILj256ENS1_10for_each_fINS0_6detail15normal_iteratorINS0_10device_ptrItEEEENS5_16wrapped_functionI21mark_present_for_eachItEvEEEEmLj1EEEvT0_T1_SG_ ; -- Begin function _ZN6thrust23THRUST_200600_302600_NS11hip_rocprim14__parallel_for6kernelILj256ENS1_10for_each_fINS0_6detail15normal_iteratorINS0_10device_ptrItEEEENS5_16wrapped_functionI21mark_present_for_eachItEvEEEEmLj1EEEvT0_T1_SG_
	.globl	_ZN6thrust23THRUST_200600_302600_NS11hip_rocprim14__parallel_for6kernelILj256ENS1_10for_each_fINS0_6detail15normal_iteratorINS0_10device_ptrItEEEENS5_16wrapped_functionI21mark_present_for_eachItEvEEEEmLj1EEEvT0_T1_SG_
	.p2align	8
	.type	_ZN6thrust23THRUST_200600_302600_NS11hip_rocprim14__parallel_for6kernelILj256ENS1_10for_each_fINS0_6detail15normal_iteratorINS0_10device_ptrItEEEENS5_16wrapped_functionI21mark_present_for_eachItEvEEEEmLj1EEEvT0_T1_SG_,@function
_ZN6thrust23THRUST_200600_302600_NS11hip_rocprim14__parallel_for6kernelILj256ENS1_10for_each_fINS0_6detail15normal_iteratorINS0_10device_ptrItEEEENS5_16wrapped_functionI21mark_present_for_eachItEvEEEEmLj1EEEvT0_T1_SG_: ; @_ZN6thrust23THRUST_200600_302600_NS11hip_rocprim14__parallel_for6kernelILj256ENS1_10for_each_fINS0_6detail15normal_iteratorINS0_10device_ptrItEEEENS5_16wrapped_functionI21mark_present_for_eachItEvEEEEmLj1EEEvT0_T1_SG_
; %bb.0:
	s_load_dwordx8 s[8:15], s[4:5], 0x0
	s_lshl_b32 s0, s6, 8
	v_mov_b32_e32 v1, 0xff
	v_mov_b32_e32 v2, 0
	s_waitcnt lgkmcnt(0)
	s_add_u32 s2, s14, s0
	s_addc_u32 s3, s15, 0
	s_sub_u32 s0, s12, s2
	s_subb_u32 s1, s13, s3
	v_cmp_gt_u64_e32 vcc, s[0:1], v[1:2]
	s_cbranch_vccnz .LBB29_4
; %bb.1:
	v_cmp_gt_u32_e32 vcc, s0, v0
	s_mov_b64 s[4:5], 0
	s_mov_b64 s[0:1], 0
                                        ; implicit-def: $vgpr1_vgpr2
	s_and_saveexec_b64 s[6:7], vcc
; %bb.2:
	s_lshl_b64 s[12:13], s[2:3], 1
	s_add_u32 s12, s8, s12
	s_addc_u32 s13, s9, s13
	v_lshlrev_b32_e32 v1, 1, v0
	v_mov_b32_e32 v2, s13
	v_add_co_u32_e32 v1, vcc, s12, v1
	s_mov_b64 s[0:1], exec
	v_addc_co_u32_e32 v2, vcc, 0, v2, vcc
; %bb.3:
	s_or_b64 exec, exec, s[6:7]
	s_and_b64 vcc, exec, s[4:5]
	s_cbranch_vccnz .LBB29_5
	s_branch .LBB29_6
.LBB29_4:
	s_mov_b64 s[0:1], 0
                                        ; implicit-def: $vgpr1_vgpr2
	s_cbranch_execz .LBB29_6
.LBB29_5:
	s_lshl_b64 s[2:3], s[2:3], 1
	s_add_u32 s2, s8, s2
	s_addc_u32 s3, s9, s3
	v_lshlrev_b32_e32 v0, 1, v0
	v_mov_b32_e32 v2, s3
	v_add_co_u32_e32 v1, vcc, s2, v0
	v_addc_co_u32_e32 v2, vcc, 0, v2, vcc
	s_or_b64 s[0:1], s[0:1], exec
.LBB29_6:
	s_and_saveexec_b64 s[2:3], s[0:1]
	s_cbranch_execnz .LBB29_8
; %bb.7:
	s_endpgm
.LBB29_8:
	flat_load_ushort v0, v[1:2]
	v_mov_b32_e32 v1, 1
	s_waitcnt vmcnt(0) lgkmcnt(0)
	v_lshlrev_b32_e32 v0, 1, v0
	global_store_short v0, v1, s[10:11]
	s_endpgm
	.section	.rodata,"a",@progbits
	.p2align	6, 0x0
	.amdhsa_kernel _ZN6thrust23THRUST_200600_302600_NS11hip_rocprim14__parallel_for6kernelILj256ENS1_10for_each_fINS0_6detail15normal_iteratorINS0_10device_ptrItEEEENS5_16wrapped_functionI21mark_present_for_eachItEvEEEEmLj1EEEvT0_T1_SG_
		.amdhsa_group_segment_fixed_size 0
		.amdhsa_private_segment_fixed_size 0
		.amdhsa_kernarg_size 32
		.amdhsa_user_sgpr_count 6
		.amdhsa_user_sgpr_private_segment_buffer 1
		.amdhsa_user_sgpr_dispatch_ptr 0
		.amdhsa_user_sgpr_queue_ptr 0
		.amdhsa_user_sgpr_kernarg_segment_ptr 1
		.amdhsa_user_sgpr_dispatch_id 0
		.amdhsa_user_sgpr_flat_scratch_init 0
		.amdhsa_user_sgpr_private_segment_size 0
		.amdhsa_uses_dynamic_stack 0
		.amdhsa_system_sgpr_private_segment_wavefront_offset 0
		.amdhsa_system_sgpr_workgroup_id_x 1
		.amdhsa_system_sgpr_workgroup_id_y 0
		.amdhsa_system_sgpr_workgroup_id_z 0
		.amdhsa_system_sgpr_workgroup_info 0
		.amdhsa_system_vgpr_workitem_id 0
		.amdhsa_next_free_vgpr 3
		.amdhsa_next_free_sgpr 16
		.amdhsa_reserve_vcc 1
		.amdhsa_reserve_flat_scratch 0
		.amdhsa_float_round_mode_32 0
		.amdhsa_float_round_mode_16_64 0
		.amdhsa_float_denorm_mode_32 3
		.amdhsa_float_denorm_mode_16_64 3
		.amdhsa_dx10_clamp 1
		.amdhsa_ieee_mode 1
		.amdhsa_fp16_overflow 0
		.amdhsa_exception_fp_ieee_invalid_op 0
		.amdhsa_exception_fp_denorm_src 0
		.amdhsa_exception_fp_ieee_div_zero 0
		.amdhsa_exception_fp_ieee_overflow 0
		.amdhsa_exception_fp_ieee_underflow 0
		.amdhsa_exception_fp_ieee_inexact 0
		.amdhsa_exception_int_div_zero 0
	.end_amdhsa_kernel
	.section	.text._ZN6thrust23THRUST_200600_302600_NS11hip_rocprim14__parallel_for6kernelILj256ENS1_10for_each_fINS0_6detail15normal_iteratorINS0_10device_ptrItEEEENS5_16wrapped_functionI21mark_present_for_eachItEvEEEEmLj1EEEvT0_T1_SG_,"axG",@progbits,_ZN6thrust23THRUST_200600_302600_NS11hip_rocprim14__parallel_for6kernelILj256ENS1_10for_each_fINS0_6detail15normal_iteratorINS0_10device_ptrItEEEENS5_16wrapped_functionI21mark_present_for_eachItEvEEEEmLj1EEEvT0_T1_SG_,comdat
.Lfunc_end29:
	.size	_ZN6thrust23THRUST_200600_302600_NS11hip_rocprim14__parallel_for6kernelILj256ENS1_10for_each_fINS0_6detail15normal_iteratorINS0_10device_ptrItEEEENS5_16wrapped_functionI21mark_present_for_eachItEvEEEEmLj1EEEvT0_T1_SG_, .Lfunc_end29-_ZN6thrust23THRUST_200600_302600_NS11hip_rocprim14__parallel_for6kernelILj256ENS1_10for_each_fINS0_6detail15normal_iteratorINS0_10device_ptrItEEEENS5_16wrapped_functionI21mark_present_for_eachItEvEEEEmLj1EEEvT0_T1_SG_
                                        ; -- End function
	.set _ZN6thrust23THRUST_200600_302600_NS11hip_rocprim14__parallel_for6kernelILj256ENS1_10for_each_fINS0_6detail15normal_iteratorINS0_10device_ptrItEEEENS5_16wrapped_functionI21mark_present_for_eachItEvEEEEmLj1EEEvT0_T1_SG_.num_vgpr, 3
	.set _ZN6thrust23THRUST_200600_302600_NS11hip_rocprim14__parallel_for6kernelILj256ENS1_10for_each_fINS0_6detail15normal_iteratorINS0_10device_ptrItEEEENS5_16wrapped_functionI21mark_present_for_eachItEvEEEEmLj1EEEvT0_T1_SG_.num_agpr, 0
	.set _ZN6thrust23THRUST_200600_302600_NS11hip_rocprim14__parallel_for6kernelILj256ENS1_10for_each_fINS0_6detail15normal_iteratorINS0_10device_ptrItEEEENS5_16wrapped_functionI21mark_present_for_eachItEvEEEEmLj1EEEvT0_T1_SG_.numbered_sgpr, 16
	.set _ZN6thrust23THRUST_200600_302600_NS11hip_rocprim14__parallel_for6kernelILj256ENS1_10for_each_fINS0_6detail15normal_iteratorINS0_10device_ptrItEEEENS5_16wrapped_functionI21mark_present_for_eachItEvEEEEmLj1EEEvT0_T1_SG_.num_named_barrier, 0
	.set _ZN6thrust23THRUST_200600_302600_NS11hip_rocprim14__parallel_for6kernelILj256ENS1_10for_each_fINS0_6detail15normal_iteratorINS0_10device_ptrItEEEENS5_16wrapped_functionI21mark_present_for_eachItEvEEEEmLj1EEEvT0_T1_SG_.private_seg_size, 0
	.set _ZN6thrust23THRUST_200600_302600_NS11hip_rocprim14__parallel_for6kernelILj256ENS1_10for_each_fINS0_6detail15normal_iteratorINS0_10device_ptrItEEEENS5_16wrapped_functionI21mark_present_for_eachItEvEEEEmLj1EEEvT0_T1_SG_.uses_vcc, 1
	.set _ZN6thrust23THRUST_200600_302600_NS11hip_rocprim14__parallel_for6kernelILj256ENS1_10for_each_fINS0_6detail15normal_iteratorINS0_10device_ptrItEEEENS5_16wrapped_functionI21mark_present_for_eachItEvEEEEmLj1EEEvT0_T1_SG_.uses_flat_scratch, 0
	.set _ZN6thrust23THRUST_200600_302600_NS11hip_rocprim14__parallel_for6kernelILj256ENS1_10for_each_fINS0_6detail15normal_iteratorINS0_10device_ptrItEEEENS5_16wrapped_functionI21mark_present_for_eachItEvEEEEmLj1EEEvT0_T1_SG_.has_dyn_sized_stack, 0
	.set _ZN6thrust23THRUST_200600_302600_NS11hip_rocprim14__parallel_for6kernelILj256ENS1_10for_each_fINS0_6detail15normal_iteratorINS0_10device_ptrItEEEENS5_16wrapped_functionI21mark_present_for_eachItEvEEEEmLj1EEEvT0_T1_SG_.has_recursion, 0
	.set _ZN6thrust23THRUST_200600_302600_NS11hip_rocprim14__parallel_for6kernelILj256ENS1_10for_each_fINS0_6detail15normal_iteratorINS0_10device_ptrItEEEENS5_16wrapped_functionI21mark_present_for_eachItEvEEEEmLj1EEEvT0_T1_SG_.has_indirect_call, 0
	.section	.AMDGPU.csdata,"",@progbits
; Kernel info:
; codeLenInByte = 200
; TotalNumSgprs: 20
; NumVgprs: 3
; ScratchSize: 0
; MemoryBound: 0
; FloatMode: 240
; IeeeMode: 1
; LDSByteSize: 0 bytes/workgroup (compile time only)
; SGPRBlocks: 2
; VGPRBlocks: 0
; NumSGPRsForWavesPerEU: 20
; NumVGPRsForWavesPerEU: 3
; Occupancy: 10
; WaveLimiterHint : 1
; COMPUTE_PGM_RSRC2:SCRATCH_EN: 0
; COMPUTE_PGM_RSRC2:USER_SGPR: 6
; COMPUTE_PGM_RSRC2:TRAP_HANDLER: 0
; COMPUTE_PGM_RSRC2:TGID_X_EN: 1
; COMPUTE_PGM_RSRC2:TGID_Y_EN: 0
; COMPUTE_PGM_RSRC2:TGID_Z_EN: 0
; COMPUTE_PGM_RSRC2:TIDIG_COMP_CNT: 0
	.section	.text._ZN6thrust23THRUST_200600_302600_NS11hip_rocprim14__parallel_for6kernelILj256ENS1_10for_each_fINS0_6detail15normal_iteratorINS0_10device_ptrIxEEEENS5_16wrapped_functionI21mark_present_for_eachIxEvEEEEmLj1EEEvT0_T1_SG_,"axG",@progbits,_ZN6thrust23THRUST_200600_302600_NS11hip_rocprim14__parallel_for6kernelILj256ENS1_10for_each_fINS0_6detail15normal_iteratorINS0_10device_ptrIxEEEENS5_16wrapped_functionI21mark_present_for_eachIxEvEEEEmLj1EEEvT0_T1_SG_,comdat
	.protected	_ZN6thrust23THRUST_200600_302600_NS11hip_rocprim14__parallel_for6kernelILj256ENS1_10for_each_fINS0_6detail15normal_iteratorINS0_10device_ptrIxEEEENS5_16wrapped_functionI21mark_present_for_eachIxEvEEEEmLj1EEEvT0_T1_SG_ ; -- Begin function _ZN6thrust23THRUST_200600_302600_NS11hip_rocprim14__parallel_for6kernelILj256ENS1_10for_each_fINS0_6detail15normal_iteratorINS0_10device_ptrIxEEEENS5_16wrapped_functionI21mark_present_for_eachIxEvEEEEmLj1EEEvT0_T1_SG_
	.globl	_ZN6thrust23THRUST_200600_302600_NS11hip_rocprim14__parallel_for6kernelILj256ENS1_10for_each_fINS0_6detail15normal_iteratorINS0_10device_ptrIxEEEENS5_16wrapped_functionI21mark_present_for_eachIxEvEEEEmLj1EEEvT0_T1_SG_
	.p2align	8
	.type	_ZN6thrust23THRUST_200600_302600_NS11hip_rocprim14__parallel_for6kernelILj256ENS1_10for_each_fINS0_6detail15normal_iteratorINS0_10device_ptrIxEEEENS5_16wrapped_functionI21mark_present_for_eachIxEvEEEEmLj1EEEvT0_T1_SG_,@function
_ZN6thrust23THRUST_200600_302600_NS11hip_rocprim14__parallel_for6kernelILj256ENS1_10for_each_fINS0_6detail15normal_iteratorINS0_10device_ptrIxEEEENS5_16wrapped_functionI21mark_present_for_eachIxEvEEEEmLj1EEEvT0_T1_SG_: ; @_ZN6thrust23THRUST_200600_302600_NS11hip_rocprim14__parallel_for6kernelILj256ENS1_10for_each_fINS0_6detail15normal_iteratorINS0_10device_ptrIxEEEENS5_16wrapped_functionI21mark_present_for_eachIxEvEEEEmLj1EEEvT0_T1_SG_
; %bb.0:
	s_load_dwordx8 s[8:15], s[4:5], 0x0
	s_lshl_b32 s0, s6, 8
	v_mov_b32_e32 v1, 0xff
	v_mov_b32_e32 v2, 0
	s_waitcnt lgkmcnt(0)
	s_add_u32 s2, s14, s0
	s_addc_u32 s3, s15, 0
	s_sub_u32 s0, s12, s2
	s_subb_u32 s1, s13, s3
	v_cmp_gt_u64_e32 vcc, s[0:1], v[1:2]
	s_cbranch_vccnz .LBB30_4
; %bb.1:
	v_cmp_gt_u32_e32 vcc, s0, v0
	s_mov_b64 s[4:5], 0
	s_mov_b64 s[0:1], 0
                                        ; implicit-def: $vgpr1_vgpr2
	s_and_saveexec_b64 s[6:7], vcc
; %bb.2:
	s_lshl_b64 s[12:13], s[2:3], 3
	s_add_u32 s12, s8, s12
	s_addc_u32 s13, s9, s13
	v_lshlrev_b32_e32 v1, 3, v0
	v_mov_b32_e32 v2, s13
	v_add_co_u32_e32 v1, vcc, s12, v1
	s_mov_b64 s[0:1], exec
	v_addc_co_u32_e32 v2, vcc, 0, v2, vcc
; %bb.3:
	s_or_b64 exec, exec, s[6:7]
	s_and_b64 vcc, exec, s[4:5]
	s_cbranch_vccnz .LBB30_5
	s_branch .LBB30_6
.LBB30_4:
	s_mov_b64 s[0:1], 0
                                        ; implicit-def: $vgpr1_vgpr2
	s_cbranch_execz .LBB30_6
.LBB30_5:
	s_lshl_b64 s[2:3], s[2:3], 3
	s_add_u32 s2, s8, s2
	s_addc_u32 s3, s9, s3
	v_lshlrev_b32_e32 v0, 3, v0
	v_mov_b32_e32 v2, s3
	v_add_co_u32_e32 v1, vcc, s2, v0
	v_addc_co_u32_e32 v2, vcc, 0, v2, vcc
	s_or_b64 s[0:1], s[0:1], exec
.LBB30_6:
	s_and_saveexec_b64 s[2:3], s[0:1]
	s_cbranch_execnz .LBB30_8
; %bb.7:
	s_endpgm
.LBB30_8:
	flat_load_dword v1, v[1:2]
	v_mov_b32_e32 v0, 0
	v_mov_b32_e32 v6, s11
	v_mov_b32_e32 v2, 1
	s_waitcnt vmcnt(0) lgkmcnt(0)
	v_ashrrev_i64 v[3:4], 29, v[0:1]
	v_add_co_u32_e32 v5, vcc, s10, v3
	v_addc_co_u32_e32 v6, vcc, v6, v4, vcc
	v_mov_b32_e32 v3, v0
	global_store_dwordx2 v[5:6], v[2:3], off
	s_endpgm
	.section	.rodata,"a",@progbits
	.p2align	6, 0x0
	.amdhsa_kernel _ZN6thrust23THRUST_200600_302600_NS11hip_rocprim14__parallel_for6kernelILj256ENS1_10for_each_fINS0_6detail15normal_iteratorINS0_10device_ptrIxEEEENS5_16wrapped_functionI21mark_present_for_eachIxEvEEEEmLj1EEEvT0_T1_SG_
		.amdhsa_group_segment_fixed_size 0
		.amdhsa_private_segment_fixed_size 0
		.amdhsa_kernarg_size 32
		.amdhsa_user_sgpr_count 6
		.amdhsa_user_sgpr_private_segment_buffer 1
		.amdhsa_user_sgpr_dispatch_ptr 0
		.amdhsa_user_sgpr_queue_ptr 0
		.amdhsa_user_sgpr_kernarg_segment_ptr 1
		.amdhsa_user_sgpr_dispatch_id 0
		.amdhsa_user_sgpr_flat_scratch_init 0
		.amdhsa_user_sgpr_private_segment_size 0
		.amdhsa_uses_dynamic_stack 0
		.amdhsa_system_sgpr_private_segment_wavefront_offset 0
		.amdhsa_system_sgpr_workgroup_id_x 1
		.amdhsa_system_sgpr_workgroup_id_y 0
		.amdhsa_system_sgpr_workgroup_id_z 0
		.amdhsa_system_sgpr_workgroup_info 0
		.amdhsa_system_vgpr_workitem_id 0
		.amdhsa_next_free_vgpr 7
		.amdhsa_next_free_sgpr 16
		.amdhsa_reserve_vcc 1
		.amdhsa_reserve_flat_scratch 0
		.amdhsa_float_round_mode_32 0
		.amdhsa_float_round_mode_16_64 0
		.amdhsa_float_denorm_mode_32 3
		.amdhsa_float_denorm_mode_16_64 3
		.amdhsa_dx10_clamp 1
		.amdhsa_ieee_mode 1
		.amdhsa_fp16_overflow 0
		.amdhsa_exception_fp_ieee_invalid_op 0
		.amdhsa_exception_fp_denorm_src 0
		.amdhsa_exception_fp_ieee_div_zero 0
		.amdhsa_exception_fp_ieee_overflow 0
		.amdhsa_exception_fp_ieee_underflow 0
		.amdhsa_exception_fp_ieee_inexact 0
		.amdhsa_exception_int_div_zero 0
	.end_amdhsa_kernel
	.section	.text._ZN6thrust23THRUST_200600_302600_NS11hip_rocprim14__parallel_for6kernelILj256ENS1_10for_each_fINS0_6detail15normal_iteratorINS0_10device_ptrIxEEEENS5_16wrapped_functionI21mark_present_for_eachIxEvEEEEmLj1EEEvT0_T1_SG_,"axG",@progbits,_ZN6thrust23THRUST_200600_302600_NS11hip_rocprim14__parallel_for6kernelILj256ENS1_10for_each_fINS0_6detail15normal_iteratorINS0_10device_ptrIxEEEENS5_16wrapped_functionI21mark_present_for_eachIxEvEEEEmLj1EEEvT0_T1_SG_,comdat
.Lfunc_end30:
	.size	_ZN6thrust23THRUST_200600_302600_NS11hip_rocprim14__parallel_for6kernelILj256ENS1_10for_each_fINS0_6detail15normal_iteratorINS0_10device_ptrIxEEEENS5_16wrapped_functionI21mark_present_for_eachIxEvEEEEmLj1EEEvT0_T1_SG_, .Lfunc_end30-_ZN6thrust23THRUST_200600_302600_NS11hip_rocprim14__parallel_for6kernelILj256ENS1_10for_each_fINS0_6detail15normal_iteratorINS0_10device_ptrIxEEEENS5_16wrapped_functionI21mark_present_for_eachIxEvEEEEmLj1EEEvT0_T1_SG_
                                        ; -- End function
	.set _ZN6thrust23THRUST_200600_302600_NS11hip_rocprim14__parallel_for6kernelILj256ENS1_10for_each_fINS0_6detail15normal_iteratorINS0_10device_ptrIxEEEENS5_16wrapped_functionI21mark_present_for_eachIxEvEEEEmLj1EEEvT0_T1_SG_.num_vgpr, 7
	.set _ZN6thrust23THRUST_200600_302600_NS11hip_rocprim14__parallel_for6kernelILj256ENS1_10for_each_fINS0_6detail15normal_iteratorINS0_10device_ptrIxEEEENS5_16wrapped_functionI21mark_present_for_eachIxEvEEEEmLj1EEEvT0_T1_SG_.num_agpr, 0
	.set _ZN6thrust23THRUST_200600_302600_NS11hip_rocprim14__parallel_for6kernelILj256ENS1_10for_each_fINS0_6detail15normal_iteratorINS0_10device_ptrIxEEEENS5_16wrapped_functionI21mark_present_for_eachIxEvEEEEmLj1EEEvT0_T1_SG_.numbered_sgpr, 16
	.set _ZN6thrust23THRUST_200600_302600_NS11hip_rocprim14__parallel_for6kernelILj256ENS1_10for_each_fINS0_6detail15normal_iteratorINS0_10device_ptrIxEEEENS5_16wrapped_functionI21mark_present_for_eachIxEvEEEEmLj1EEEvT0_T1_SG_.num_named_barrier, 0
	.set _ZN6thrust23THRUST_200600_302600_NS11hip_rocprim14__parallel_for6kernelILj256ENS1_10for_each_fINS0_6detail15normal_iteratorINS0_10device_ptrIxEEEENS5_16wrapped_functionI21mark_present_for_eachIxEvEEEEmLj1EEEvT0_T1_SG_.private_seg_size, 0
	.set _ZN6thrust23THRUST_200600_302600_NS11hip_rocprim14__parallel_for6kernelILj256ENS1_10for_each_fINS0_6detail15normal_iteratorINS0_10device_ptrIxEEEENS5_16wrapped_functionI21mark_present_for_eachIxEvEEEEmLj1EEEvT0_T1_SG_.uses_vcc, 1
	.set _ZN6thrust23THRUST_200600_302600_NS11hip_rocprim14__parallel_for6kernelILj256ENS1_10for_each_fINS0_6detail15normal_iteratorINS0_10device_ptrIxEEEENS5_16wrapped_functionI21mark_present_for_eachIxEvEEEEmLj1EEEvT0_T1_SG_.uses_flat_scratch, 0
	.set _ZN6thrust23THRUST_200600_302600_NS11hip_rocprim14__parallel_for6kernelILj256ENS1_10for_each_fINS0_6detail15normal_iteratorINS0_10device_ptrIxEEEENS5_16wrapped_functionI21mark_present_for_eachIxEvEEEEmLj1EEEvT0_T1_SG_.has_dyn_sized_stack, 0
	.set _ZN6thrust23THRUST_200600_302600_NS11hip_rocprim14__parallel_for6kernelILj256ENS1_10for_each_fINS0_6detail15normal_iteratorINS0_10device_ptrIxEEEENS5_16wrapped_functionI21mark_present_for_eachIxEvEEEEmLj1EEEvT0_T1_SG_.has_recursion, 0
	.set _ZN6thrust23THRUST_200600_302600_NS11hip_rocprim14__parallel_for6kernelILj256ENS1_10for_each_fINS0_6detail15normal_iteratorINS0_10device_ptrIxEEEENS5_16wrapped_functionI21mark_present_for_eachIxEvEEEEmLj1EEEvT0_T1_SG_.has_indirect_call, 0
	.section	.AMDGPU.csdata,"",@progbits
; Kernel info:
; codeLenInByte = 224
; TotalNumSgprs: 20
; NumVgprs: 7
; ScratchSize: 0
; MemoryBound: 0
; FloatMode: 240
; IeeeMode: 1
; LDSByteSize: 0 bytes/workgroup (compile time only)
; SGPRBlocks: 2
; VGPRBlocks: 1
; NumSGPRsForWavesPerEU: 20
; NumVGPRsForWavesPerEU: 7
; Occupancy: 10
; WaveLimiterHint : 1
; COMPUTE_PGM_RSRC2:SCRATCH_EN: 0
; COMPUTE_PGM_RSRC2:USER_SGPR: 6
; COMPUTE_PGM_RSRC2:TRAP_HANDLER: 0
; COMPUTE_PGM_RSRC2:TGID_X_EN: 1
; COMPUTE_PGM_RSRC2:TGID_Y_EN: 0
; COMPUTE_PGM_RSRC2:TGID_Z_EN: 0
; COMPUTE_PGM_RSRC2:TIDIG_COMP_CNT: 0
	.section	.text._ZN6thrust23THRUST_200600_302600_NS11hip_rocprim14__parallel_for6kernelILj256ENS1_10for_each_fINS0_6detail15normal_iteratorINS0_10device_ptrIiEEEENS5_16wrapped_functionI21mark_present_for_eachIiEvEEEEmLj1EEEvT0_T1_SG_,"axG",@progbits,_ZN6thrust23THRUST_200600_302600_NS11hip_rocprim14__parallel_for6kernelILj256ENS1_10for_each_fINS0_6detail15normal_iteratorINS0_10device_ptrIiEEEENS5_16wrapped_functionI21mark_present_for_eachIiEvEEEEmLj1EEEvT0_T1_SG_,comdat
	.protected	_ZN6thrust23THRUST_200600_302600_NS11hip_rocprim14__parallel_for6kernelILj256ENS1_10for_each_fINS0_6detail15normal_iteratorINS0_10device_ptrIiEEEENS5_16wrapped_functionI21mark_present_for_eachIiEvEEEEmLj1EEEvT0_T1_SG_ ; -- Begin function _ZN6thrust23THRUST_200600_302600_NS11hip_rocprim14__parallel_for6kernelILj256ENS1_10for_each_fINS0_6detail15normal_iteratorINS0_10device_ptrIiEEEENS5_16wrapped_functionI21mark_present_for_eachIiEvEEEEmLj1EEEvT0_T1_SG_
	.globl	_ZN6thrust23THRUST_200600_302600_NS11hip_rocprim14__parallel_for6kernelILj256ENS1_10for_each_fINS0_6detail15normal_iteratorINS0_10device_ptrIiEEEENS5_16wrapped_functionI21mark_present_for_eachIiEvEEEEmLj1EEEvT0_T1_SG_
	.p2align	8
	.type	_ZN6thrust23THRUST_200600_302600_NS11hip_rocprim14__parallel_for6kernelILj256ENS1_10for_each_fINS0_6detail15normal_iteratorINS0_10device_ptrIiEEEENS5_16wrapped_functionI21mark_present_for_eachIiEvEEEEmLj1EEEvT0_T1_SG_,@function
_ZN6thrust23THRUST_200600_302600_NS11hip_rocprim14__parallel_for6kernelILj256ENS1_10for_each_fINS0_6detail15normal_iteratorINS0_10device_ptrIiEEEENS5_16wrapped_functionI21mark_present_for_eachIiEvEEEEmLj1EEEvT0_T1_SG_: ; @_ZN6thrust23THRUST_200600_302600_NS11hip_rocprim14__parallel_for6kernelILj256ENS1_10for_each_fINS0_6detail15normal_iteratorINS0_10device_ptrIiEEEENS5_16wrapped_functionI21mark_present_for_eachIiEvEEEEmLj1EEEvT0_T1_SG_
; %bb.0:
	s_load_dwordx8 s[8:15], s[4:5], 0x0
	s_lshl_b32 s0, s6, 8
	v_mov_b32_e32 v1, 0xff
	v_mov_b32_e32 v2, 0
	s_waitcnt lgkmcnt(0)
	s_add_u32 s2, s14, s0
	s_addc_u32 s3, s15, 0
	s_sub_u32 s0, s12, s2
	s_subb_u32 s1, s13, s3
	v_cmp_gt_u64_e32 vcc, s[0:1], v[1:2]
	s_cbranch_vccnz .LBB31_4
; %bb.1:
	v_cmp_gt_u32_e32 vcc, s0, v0
	s_mov_b64 s[4:5], 0
	s_mov_b64 s[0:1], 0
                                        ; implicit-def: $vgpr1_vgpr2
	s_and_saveexec_b64 s[6:7], vcc
; %bb.2:
	s_lshl_b64 s[12:13], s[2:3], 2
	s_add_u32 s12, s8, s12
	s_addc_u32 s13, s9, s13
	v_lshlrev_b32_e32 v1, 2, v0
	v_mov_b32_e32 v2, s13
	v_add_co_u32_e32 v1, vcc, s12, v1
	s_mov_b64 s[0:1], exec
	v_addc_co_u32_e32 v2, vcc, 0, v2, vcc
; %bb.3:
	s_or_b64 exec, exec, s[6:7]
	s_and_b64 vcc, exec, s[4:5]
	s_cbranch_vccnz .LBB31_5
	s_branch .LBB31_6
.LBB31_4:
	s_mov_b64 s[0:1], 0
                                        ; implicit-def: $vgpr1_vgpr2
	s_cbranch_execz .LBB31_6
.LBB31_5:
	s_lshl_b64 s[2:3], s[2:3], 2
	s_add_u32 s2, s8, s2
	s_addc_u32 s3, s9, s3
	v_lshlrev_b32_e32 v0, 2, v0
	v_mov_b32_e32 v2, s3
	v_add_co_u32_e32 v1, vcc, s2, v0
	v_addc_co_u32_e32 v2, vcc, 0, v2, vcc
	s_or_b64 s[0:1], s[0:1], exec
.LBB31_6:
	s_and_saveexec_b64 s[2:3], s[0:1]
	s_cbranch_execnz .LBB31_8
; %bb.7:
	s_endpgm
.LBB31_8:
	flat_load_dword v0, v[1:2]
	v_mov_b32_e32 v2, s11
	s_waitcnt vmcnt(0) lgkmcnt(0)
	v_ashrrev_i32_e32 v1, 31, v0
	v_lshlrev_b64 v[0:1], 2, v[0:1]
	v_add_co_u32_e32 v0, vcc, s10, v0
	v_addc_co_u32_e32 v1, vcc, v2, v1, vcc
	v_mov_b32_e32 v2, 1
	global_store_dword v[0:1], v2, off
	s_endpgm
	.section	.rodata,"a",@progbits
	.p2align	6, 0x0
	.amdhsa_kernel _ZN6thrust23THRUST_200600_302600_NS11hip_rocprim14__parallel_for6kernelILj256ENS1_10for_each_fINS0_6detail15normal_iteratorINS0_10device_ptrIiEEEENS5_16wrapped_functionI21mark_present_for_eachIiEvEEEEmLj1EEEvT0_T1_SG_
		.amdhsa_group_segment_fixed_size 0
		.amdhsa_private_segment_fixed_size 0
		.amdhsa_kernarg_size 32
		.amdhsa_user_sgpr_count 6
		.amdhsa_user_sgpr_private_segment_buffer 1
		.amdhsa_user_sgpr_dispatch_ptr 0
		.amdhsa_user_sgpr_queue_ptr 0
		.amdhsa_user_sgpr_kernarg_segment_ptr 1
		.amdhsa_user_sgpr_dispatch_id 0
		.amdhsa_user_sgpr_flat_scratch_init 0
		.amdhsa_user_sgpr_private_segment_size 0
		.amdhsa_uses_dynamic_stack 0
		.amdhsa_system_sgpr_private_segment_wavefront_offset 0
		.amdhsa_system_sgpr_workgroup_id_x 1
		.amdhsa_system_sgpr_workgroup_id_y 0
		.amdhsa_system_sgpr_workgroup_id_z 0
		.amdhsa_system_sgpr_workgroup_info 0
		.amdhsa_system_vgpr_workitem_id 0
		.amdhsa_next_free_vgpr 3
		.amdhsa_next_free_sgpr 16
		.amdhsa_reserve_vcc 1
		.amdhsa_reserve_flat_scratch 0
		.amdhsa_float_round_mode_32 0
		.amdhsa_float_round_mode_16_64 0
		.amdhsa_float_denorm_mode_32 3
		.amdhsa_float_denorm_mode_16_64 3
		.amdhsa_dx10_clamp 1
		.amdhsa_ieee_mode 1
		.amdhsa_fp16_overflow 0
		.amdhsa_exception_fp_ieee_invalid_op 0
		.amdhsa_exception_fp_denorm_src 0
		.amdhsa_exception_fp_ieee_div_zero 0
		.amdhsa_exception_fp_ieee_overflow 0
		.amdhsa_exception_fp_ieee_underflow 0
		.amdhsa_exception_fp_ieee_inexact 0
		.amdhsa_exception_int_div_zero 0
	.end_amdhsa_kernel
	.section	.text._ZN6thrust23THRUST_200600_302600_NS11hip_rocprim14__parallel_for6kernelILj256ENS1_10for_each_fINS0_6detail15normal_iteratorINS0_10device_ptrIiEEEENS5_16wrapped_functionI21mark_present_for_eachIiEvEEEEmLj1EEEvT0_T1_SG_,"axG",@progbits,_ZN6thrust23THRUST_200600_302600_NS11hip_rocprim14__parallel_for6kernelILj256ENS1_10for_each_fINS0_6detail15normal_iteratorINS0_10device_ptrIiEEEENS5_16wrapped_functionI21mark_present_for_eachIiEvEEEEmLj1EEEvT0_T1_SG_,comdat
.Lfunc_end31:
	.size	_ZN6thrust23THRUST_200600_302600_NS11hip_rocprim14__parallel_for6kernelILj256ENS1_10for_each_fINS0_6detail15normal_iteratorINS0_10device_ptrIiEEEENS5_16wrapped_functionI21mark_present_for_eachIiEvEEEEmLj1EEEvT0_T1_SG_, .Lfunc_end31-_ZN6thrust23THRUST_200600_302600_NS11hip_rocprim14__parallel_for6kernelILj256ENS1_10for_each_fINS0_6detail15normal_iteratorINS0_10device_ptrIiEEEENS5_16wrapped_functionI21mark_present_for_eachIiEvEEEEmLj1EEEvT0_T1_SG_
                                        ; -- End function
	.set _ZN6thrust23THRUST_200600_302600_NS11hip_rocprim14__parallel_for6kernelILj256ENS1_10for_each_fINS0_6detail15normal_iteratorINS0_10device_ptrIiEEEENS5_16wrapped_functionI21mark_present_for_eachIiEvEEEEmLj1EEEvT0_T1_SG_.num_vgpr, 3
	.set _ZN6thrust23THRUST_200600_302600_NS11hip_rocprim14__parallel_for6kernelILj256ENS1_10for_each_fINS0_6detail15normal_iteratorINS0_10device_ptrIiEEEENS5_16wrapped_functionI21mark_present_for_eachIiEvEEEEmLj1EEEvT0_T1_SG_.num_agpr, 0
	.set _ZN6thrust23THRUST_200600_302600_NS11hip_rocprim14__parallel_for6kernelILj256ENS1_10for_each_fINS0_6detail15normal_iteratorINS0_10device_ptrIiEEEENS5_16wrapped_functionI21mark_present_for_eachIiEvEEEEmLj1EEEvT0_T1_SG_.numbered_sgpr, 16
	.set _ZN6thrust23THRUST_200600_302600_NS11hip_rocprim14__parallel_for6kernelILj256ENS1_10for_each_fINS0_6detail15normal_iteratorINS0_10device_ptrIiEEEENS5_16wrapped_functionI21mark_present_for_eachIiEvEEEEmLj1EEEvT0_T1_SG_.num_named_barrier, 0
	.set _ZN6thrust23THRUST_200600_302600_NS11hip_rocprim14__parallel_for6kernelILj256ENS1_10for_each_fINS0_6detail15normal_iteratorINS0_10device_ptrIiEEEENS5_16wrapped_functionI21mark_present_for_eachIiEvEEEEmLj1EEEvT0_T1_SG_.private_seg_size, 0
	.set _ZN6thrust23THRUST_200600_302600_NS11hip_rocprim14__parallel_for6kernelILj256ENS1_10for_each_fINS0_6detail15normal_iteratorINS0_10device_ptrIiEEEENS5_16wrapped_functionI21mark_present_for_eachIiEvEEEEmLj1EEEvT0_T1_SG_.uses_vcc, 1
	.set _ZN6thrust23THRUST_200600_302600_NS11hip_rocprim14__parallel_for6kernelILj256ENS1_10for_each_fINS0_6detail15normal_iteratorINS0_10device_ptrIiEEEENS5_16wrapped_functionI21mark_present_for_eachIiEvEEEEmLj1EEEvT0_T1_SG_.uses_flat_scratch, 0
	.set _ZN6thrust23THRUST_200600_302600_NS11hip_rocprim14__parallel_for6kernelILj256ENS1_10for_each_fINS0_6detail15normal_iteratorINS0_10device_ptrIiEEEENS5_16wrapped_functionI21mark_present_for_eachIiEvEEEEmLj1EEEvT0_T1_SG_.has_dyn_sized_stack, 0
	.set _ZN6thrust23THRUST_200600_302600_NS11hip_rocprim14__parallel_for6kernelILj256ENS1_10for_each_fINS0_6detail15normal_iteratorINS0_10device_ptrIiEEEENS5_16wrapped_functionI21mark_present_for_eachIiEvEEEEmLj1EEEvT0_T1_SG_.has_recursion, 0
	.set _ZN6thrust23THRUST_200600_302600_NS11hip_rocprim14__parallel_for6kernelILj256ENS1_10for_each_fINS0_6detail15normal_iteratorINS0_10device_ptrIiEEEENS5_16wrapped_functionI21mark_present_for_eachIiEvEEEEmLj1EEEvT0_T1_SG_.has_indirect_call, 0
	.section	.AMDGPU.csdata,"",@progbits
; Kernel info:
; codeLenInByte = 220
; TotalNumSgprs: 20
; NumVgprs: 3
; ScratchSize: 0
; MemoryBound: 0
; FloatMode: 240
; IeeeMode: 1
; LDSByteSize: 0 bytes/workgroup (compile time only)
; SGPRBlocks: 2
; VGPRBlocks: 0
; NumSGPRsForWavesPerEU: 20
; NumVGPRsForWavesPerEU: 3
; Occupancy: 10
; WaveLimiterHint : 1
; COMPUTE_PGM_RSRC2:SCRATCH_EN: 0
; COMPUTE_PGM_RSRC2:USER_SGPR: 6
; COMPUTE_PGM_RSRC2:TRAP_HANDLER: 0
; COMPUTE_PGM_RSRC2:TGID_X_EN: 1
; COMPUTE_PGM_RSRC2:TGID_Y_EN: 0
; COMPUTE_PGM_RSRC2:TGID_Z_EN: 0
; COMPUTE_PGM_RSRC2:TIDIG_COMP_CNT: 0
	.section	.text._ZN6thrust23THRUST_200600_302600_NS11hip_rocprim14__parallel_for6kernelILj256ENS1_10for_each_fINS0_6detail15normal_iteratorINS0_10device_ptrIsEEEENS5_16wrapped_functionI21mark_present_for_eachIsEvEEEEmLj1EEEvT0_T1_SG_,"axG",@progbits,_ZN6thrust23THRUST_200600_302600_NS11hip_rocprim14__parallel_for6kernelILj256ENS1_10for_each_fINS0_6detail15normal_iteratorINS0_10device_ptrIsEEEENS5_16wrapped_functionI21mark_present_for_eachIsEvEEEEmLj1EEEvT0_T1_SG_,comdat
	.protected	_ZN6thrust23THRUST_200600_302600_NS11hip_rocprim14__parallel_for6kernelILj256ENS1_10for_each_fINS0_6detail15normal_iteratorINS0_10device_ptrIsEEEENS5_16wrapped_functionI21mark_present_for_eachIsEvEEEEmLj1EEEvT0_T1_SG_ ; -- Begin function _ZN6thrust23THRUST_200600_302600_NS11hip_rocprim14__parallel_for6kernelILj256ENS1_10for_each_fINS0_6detail15normal_iteratorINS0_10device_ptrIsEEEENS5_16wrapped_functionI21mark_present_for_eachIsEvEEEEmLj1EEEvT0_T1_SG_
	.globl	_ZN6thrust23THRUST_200600_302600_NS11hip_rocprim14__parallel_for6kernelILj256ENS1_10for_each_fINS0_6detail15normal_iteratorINS0_10device_ptrIsEEEENS5_16wrapped_functionI21mark_present_for_eachIsEvEEEEmLj1EEEvT0_T1_SG_
	.p2align	8
	.type	_ZN6thrust23THRUST_200600_302600_NS11hip_rocprim14__parallel_for6kernelILj256ENS1_10for_each_fINS0_6detail15normal_iteratorINS0_10device_ptrIsEEEENS5_16wrapped_functionI21mark_present_for_eachIsEvEEEEmLj1EEEvT0_T1_SG_,@function
_ZN6thrust23THRUST_200600_302600_NS11hip_rocprim14__parallel_for6kernelILj256ENS1_10for_each_fINS0_6detail15normal_iteratorINS0_10device_ptrIsEEEENS5_16wrapped_functionI21mark_present_for_eachIsEvEEEEmLj1EEEvT0_T1_SG_: ; @_ZN6thrust23THRUST_200600_302600_NS11hip_rocprim14__parallel_for6kernelILj256ENS1_10for_each_fINS0_6detail15normal_iteratorINS0_10device_ptrIsEEEENS5_16wrapped_functionI21mark_present_for_eachIsEvEEEEmLj1EEEvT0_T1_SG_
; %bb.0:
	s_load_dwordx8 s[8:15], s[4:5], 0x0
	s_lshl_b32 s0, s6, 8
	v_mov_b32_e32 v1, 0xff
	v_mov_b32_e32 v2, 0
	s_waitcnt lgkmcnt(0)
	s_add_u32 s2, s14, s0
	s_addc_u32 s3, s15, 0
	s_sub_u32 s0, s12, s2
	s_subb_u32 s1, s13, s3
	v_cmp_gt_u64_e32 vcc, s[0:1], v[1:2]
	s_cbranch_vccnz .LBB32_4
; %bb.1:
	v_cmp_gt_u32_e32 vcc, s0, v0
	s_mov_b64 s[4:5], 0
	s_mov_b64 s[0:1], 0
                                        ; implicit-def: $vgpr1_vgpr2
	s_and_saveexec_b64 s[6:7], vcc
; %bb.2:
	s_lshl_b64 s[12:13], s[2:3], 1
	s_add_u32 s12, s8, s12
	s_addc_u32 s13, s9, s13
	v_lshlrev_b32_e32 v1, 1, v0
	v_mov_b32_e32 v2, s13
	v_add_co_u32_e32 v1, vcc, s12, v1
	s_mov_b64 s[0:1], exec
	v_addc_co_u32_e32 v2, vcc, 0, v2, vcc
; %bb.3:
	s_or_b64 exec, exec, s[6:7]
	s_and_b64 vcc, exec, s[4:5]
	s_cbranch_vccnz .LBB32_5
	s_branch .LBB32_6
.LBB32_4:
	s_mov_b64 s[0:1], 0
                                        ; implicit-def: $vgpr1_vgpr2
	s_cbranch_execz .LBB32_6
.LBB32_5:
	s_lshl_b64 s[2:3], s[2:3], 1
	s_add_u32 s2, s8, s2
	s_addc_u32 s3, s9, s3
	v_lshlrev_b32_e32 v0, 1, v0
	v_mov_b32_e32 v2, s3
	v_add_co_u32_e32 v1, vcc, s2, v0
	v_addc_co_u32_e32 v2, vcc, 0, v2, vcc
	s_or_b64 s[0:1], s[0:1], exec
.LBB32_6:
	s_and_saveexec_b64 s[2:3], s[0:1]
	s_cbranch_execnz .LBB32_8
; %bb.7:
	s_endpgm
.LBB32_8:
	flat_load_ushort v0, v[1:2]
	v_mov_b32_e32 v2, s11
	s_waitcnt vmcnt(0) lgkmcnt(0)
	v_bfe_i32 v0, v0, 0, 16
	v_ashrrev_i32_e32 v1, 31, v0
	v_lshlrev_b64 v[0:1], 1, v[0:1]
	v_add_co_u32_e32 v0, vcc, s10, v0
	v_addc_co_u32_e32 v1, vcc, v2, v1, vcc
	v_mov_b32_e32 v2, 1
	global_store_short v[0:1], v2, off
	s_endpgm
	.section	.rodata,"a",@progbits
	.p2align	6, 0x0
	.amdhsa_kernel _ZN6thrust23THRUST_200600_302600_NS11hip_rocprim14__parallel_for6kernelILj256ENS1_10for_each_fINS0_6detail15normal_iteratorINS0_10device_ptrIsEEEENS5_16wrapped_functionI21mark_present_for_eachIsEvEEEEmLj1EEEvT0_T1_SG_
		.amdhsa_group_segment_fixed_size 0
		.amdhsa_private_segment_fixed_size 0
		.amdhsa_kernarg_size 32
		.amdhsa_user_sgpr_count 6
		.amdhsa_user_sgpr_private_segment_buffer 1
		.amdhsa_user_sgpr_dispatch_ptr 0
		.amdhsa_user_sgpr_queue_ptr 0
		.amdhsa_user_sgpr_kernarg_segment_ptr 1
		.amdhsa_user_sgpr_dispatch_id 0
		.amdhsa_user_sgpr_flat_scratch_init 0
		.amdhsa_user_sgpr_private_segment_size 0
		.amdhsa_uses_dynamic_stack 0
		.amdhsa_system_sgpr_private_segment_wavefront_offset 0
		.amdhsa_system_sgpr_workgroup_id_x 1
		.amdhsa_system_sgpr_workgroup_id_y 0
		.amdhsa_system_sgpr_workgroup_id_z 0
		.amdhsa_system_sgpr_workgroup_info 0
		.amdhsa_system_vgpr_workitem_id 0
		.amdhsa_next_free_vgpr 3
		.amdhsa_next_free_sgpr 16
		.amdhsa_reserve_vcc 1
		.amdhsa_reserve_flat_scratch 0
		.amdhsa_float_round_mode_32 0
		.amdhsa_float_round_mode_16_64 0
		.amdhsa_float_denorm_mode_32 3
		.amdhsa_float_denorm_mode_16_64 3
		.amdhsa_dx10_clamp 1
		.amdhsa_ieee_mode 1
		.amdhsa_fp16_overflow 0
		.amdhsa_exception_fp_ieee_invalid_op 0
		.amdhsa_exception_fp_denorm_src 0
		.amdhsa_exception_fp_ieee_div_zero 0
		.amdhsa_exception_fp_ieee_overflow 0
		.amdhsa_exception_fp_ieee_underflow 0
		.amdhsa_exception_fp_ieee_inexact 0
		.amdhsa_exception_int_div_zero 0
	.end_amdhsa_kernel
	.section	.text._ZN6thrust23THRUST_200600_302600_NS11hip_rocprim14__parallel_for6kernelILj256ENS1_10for_each_fINS0_6detail15normal_iteratorINS0_10device_ptrIsEEEENS5_16wrapped_functionI21mark_present_for_eachIsEvEEEEmLj1EEEvT0_T1_SG_,"axG",@progbits,_ZN6thrust23THRUST_200600_302600_NS11hip_rocprim14__parallel_for6kernelILj256ENS1_10for_each_fINS0_6detail15normal_iteratorINS0_10device_ptrIsEEEENS5_16wrapped_functionI21mark_present_for_eachIsEvEEEEmLj1EEEvT0_T1_SG_,comdat
.Lfunc_end32:
	.size	_ZN6thrust23THRUST_200600_302600_NS11hip_rocprim14__parallel_for6kernelILj256ENS1_10for_each_fINS0_6detail15normal_iteratorINS0_10device_ptrIsEEEENS5_16wrapped_functionI21mark_present_for_eachIsEvEEEEmLj1EEEvT0_T1_SG_, .Lfunc_end32-_ZN6thrust23THRUST_200600_302600_NS11hip_rocprim14__parallel_for6kernelILj256ENS1_10for_each_fINS0_6detail15normal_iteratorINS0_10device_ptrIsEEEENS5_16wrapped_functionI21mark_present_for_eachIsEvEEEEmLj1EEEvT0_T1_SG_
                                        ; -- End function
	.set _ZN6thrust23THRUST_200600_302600_NS11hip_rocprim14__parallel_for6kernelILj256ENS1_10for_each_fINS0_6detail15normal_iteratorINS0_10device_ptrIsEEEENS5_16wrapped_functionI21mark_present_for_eachIsEvEEEEmLj1EEEvT0_T1_SG_.num_vgpr, 3
	.set _ZN6thrust23THRUST_200600_302600_NS11hip_rocprim14__parallel_for6kernelILj256ENS1_10for_each_fINS0_6detail15normal_iteratorINS0_10device_ptrIsEEEENS5_16wrapped_functionI21mark_present_for_eachIsEvEEEEmLj1EEEvT0_T1_SG_.num_agpr, 0
	.set _ZN6thrust23THRUST_200600_302600_NS11hip_rocprim14__parallel_for6kernelILj256ENS1_10for_each_fINS0_6detail15normal_iteratorINS0_10device_ptrIsEEEENS5_16wrapped_functionI21mark_present_for_eachIsEvEEEEmLj1EEEvT0_T1_SG_.numbered_sgpr, 16
	.set _ZN6thrust23THRUST_200600_302600_NS11hip_rocprim14__parallel_for6kernelILj256ENS1_10for_each_fINS0_6detail15normal_iteratorINS0_10device_ptrIsEEEENS5_16wrapped_functionI21mark_present_for_eachIsEvEEEEmLj1EEEvT0_T1_SG_.num_named_barrier, 0
	.set _ZN6thrust23THRUST_200600_302600_NS11hip_rocprim14__parallel_for6kernelILj256ENS1_10for_each_fINS0_6detail15normal_iteratorINS0_10device_ptrIsEEEENS5_16wrapped_functionI21mark_present_for_eachIsEvEEEEmLj1EEEvT0_T1_SG_.private_seg_size, 0
	.set _ZN6thrust23THRUST_200600_302600_NS11hip_rocprim14__parallel_for6kernelILj256ENS1_10for_each_fINS0_6detail15normal_iteratorINS0_10device_ptrIsEEEENS5_16wrapped_functionI21mark_present_for_eachIsEvEEEEmLj1EEEvT0_T1_SG_.uses_vcc, 1
	.set _ZN6thrust23THRUST_200600_302600_NS11hip_rocprim14__parallel_for6kernelILj256ENS1_10for_each_fINS0_6detail15normal_iteratorINS0_10device_ptrIsEEEENS5_16wrapped_functionI21mark_present_for_eachIsEvEEEEmLj1EEEvT0_T1_SG_.uses_flat_scratch, 0
	.set _ZN6thrust23THRUST_200600_302600_NS11hip_rocprim14__parallel_for6kernelILj256ENS1_10for_each_fINS0_6detail15normal_iteratorINS0_10device_ptrIsEEEENS5_16wrapped_functionI21mark_present_for_eachIsEvEEEEmLj1EEEvT0_T1_SG_.has_dyn_sized_stack, 0
	.set _ZN6thrust23THRUST_200600_302600_NS11hip_rocprim14__parallel_for6kernelILj256ENS1_10for_each_fINS0_6detail15normal_iteratorINS0_10device_ptrIsEEEENS5_16wrapped_functionI21mark_present_for_eachIsEvEEEEmLj1EEEvT0_T1_SG_.has_recursion, 0
	.set _ZN6thrust23THRUST_200600_302600_NS11hip_rocprim14__parallel_for6kernelILj256ENS1_10for_each_fINS0_6detail15normal_iteratorINS0_10device_ptrIsEEEENS5_16wrapped_functionI21mark_present_for_eachIsEvEEEEmLj1EEEvT0_T1_SG_.has_indirect_call, 0
	.section	.AMDGPU.csdata,"",@progbits
; Kernel info:
; codeLenInByte = 228
; TotalNumSgprs: 20
; NumVgprs: 3
; ScratchSize: 0
; MemoryBound: 0
; FloatMode: 240
; IeeeMode: 1
; LDSByteSize: 0 bytes/workgroup (compile time only)
; SGPRBlocks: 2
; VGPRBlocks: 0
; NumSGPRsForWavesPerEU: 20
; NumVGPRsForWavesPerEU: 3
; Occupancy: 10
; WaveLimiterHint : 1
; COMPUTE_PGM_RSRC2:SCRATCH_EN: 0
; COMPUTE_PGM_RSRC2:USER_SGPR: 6
; COMPUTE_PGM_RSRC2:TRAP_HANDLER: 0
; COMPUTE_PGM_RSRC2:TGID_X_EN: 1
; COMPUTE_PGM_RSRC2:TGID_Y_EN: 0
; COMPUTE_PGM_RSRC2:TGID_Z_EN: 0
; COMPUTE_PGM_RSRC2:TIDIG_COMP_CNT: 0
	.section	.text._ZN6thrust23THRUST_200600_302600_NS11hip_rocprim14__parallel_for6kernelILj256ENS1_10for_each_fINS0_17counting_iteratorIiNS0_11use_defaultES6_S6_EENS0_6detail16wrapped_functionI21mark_present_for_eachIiEvEEEElLj1EEEvT0_T1_SF_,"axG",@progbits,_ZN6thrust23THRUST_200600_302600_NS11hip_rocprim14__parallel_for6kernelILj256ENS1_10for_each_fINS0_17counting_iteratorIiNS0_11use_defaultES6_S6_EENS0_6detail16wrapped_functionI21mark_present_for_eachIiEvEEEElLj1EEEvT0_T1_SF_,comdat
	.protected	_ZN6thrust23THRUST_200600_302600_NS11hip_rocprim14__parallel_for6kernelILj256ENS1_10for_each_fINS0_17counting_iteratorIiNS0_11use_defaultES6_S6_EENS0_6detail16wrapped_functionI21mark_present_for_eachIiEvEEEElLj1EEEvT0_T1_SF_ ; -- Begin function _ZN6thrust23THRUST_200600_302600_NS11hip_rocprim14__parallel_for6kernelILj256ENS1_10for_each_fINS0_17counting_iteratorIiNS0_11use_defaultES6_S6_EENS0_6detail16wrapped_functionI21mark_present_for_eachIiEvEEEElLj1EEEvT0_T1_SF_
	.globl	_ZN6thrust23THRUST_200600_302600_NS11hip_rocprim14__parallel_for6kernelILj256ENS1_10for_each_fINS0_17counting_iteratorIiNS0_11use_defaultES6_S6_EENS0_6detail16wrapped_functionI21mark_present_for_eachIiEvEEEElLj1EEEvT0_T1_SF_
	.p2align	8
	.type	_ZN6thrust23THRUST_200600_302600_NS11hip_rocprim14__parallel_for6kernelILj256ENS1_10for_each_fINS0_17counting_iteratorIiNS0_11use_defaultES6_S6_EENS0_6detail16wrapped_functionI21mark_present_for_eachIiEvEEEElLj1EEEvT0_T1_SF_,@function
_ZN6thrust23THRUST_200600_302600_NS11hip_rocprim14__parallel_for6kernelILj256ENS1_10for_each_fINS0_17counting_iteratorIiNS0_11use_defaultES6_S6_EENS0_6detail16wrapped_functionI21mark_present_for_eachIiEvEEEElLj1EEEvT0_T1_SF_: ; @_ZN6thrust23THRUST_200600_302600_NS11hip_rocprim14__parallel_for6kernelILj256ENS1_10for_each_fINS0_17counting_iteratorIiNS0_11use_defaultES6_S6_EENS0_6detail16wrapped_functionI21mark_present_for_eachIiEvEEEElLj1EEEvT0_T1_SF_
; %bb.0:
	s_load_dwordx4 s[8:11], s[4:5], 0x10
	s_lshl_b32 s0, s6, 8
	v_mov_b32_e32 v1, 0x100
	v_mov_b32_e32 v2, 0
	s_waitcnt lgkmcnt(0)
	s_add_u32 s0, s10, s0
	s_addc_u32 s1, s11, 0
	s_sub_u32 s2, s8, s0
	s_subb_u32 s3, s9, s1
	v_cmp_lt_i64_e32 vcc, s[2:3], v[1:2]
	s_and_b64 s[6:7], vcc, exec
	s_cselect_b32 s1, s2, 0x100
	s_cmpk_eq_i32 s1, 0x100
	s_cselect_b64 s[2:3], -1, 0
	v_cmp_gt_u32_e32 vcc, s1, v0
	s_or_b64 s[2:3], s[2:3], vcc
	s_and_saveexec_b64 s[6:7], s[2:3]
	s_cbranch_execz .LBB33_2
; %bb.1:
	s_load_dword s1, s[4:5], 0x0
	s_load_dwordx2 s[2:3], s[4:5], 0x8
	s_waitcnt lgkmcnt(0)
	s_add_i32 s1, s1, s0
	v_add_u32_e32 v0, s1, v0
	v_ashrrev_i32_e32 v1, 31, v0
	v_lshlrev_b64 v[0:1], 2, v[0:1]
	v_mov_b32_e32 v2, s3
	v_add_co_u32_e32 v0, vcc, s2, v0
	v_addc_co_u32_e32 v1, vcc, v2, v1, vcc
	v_mov_b32_e32 v2, 1
	global_store_dword v[0:1], v2, off
.LBB33_2:
	s_endpgm
	.section	.rodata,"a",@progbits
	.p2align	6, 0x0
	.amdhsa_kernel _ZN6thrust23THRUST_200600_302600_NS11hip_rocprim14__parallel_for6kernelILj256ENS1_10for_each_fINS0_17counting_iteratorIiNS0_11use_defaultES6_S6_EENS0_6detail16wrapped_functionI21mark_present_for_eachIiEvEEEElLj1EEEvT0_T1_SF_
		.amdhsa_group_segment_fixed_size 0
		.amdhsa_private_segment_fixed_size 0
		.amdhsa_kernarg_size 32
		.amdhsa_user_sgpr_count 6
		.amdhsa_user_sgpr_private_segment_buffer 1
		.amdhsa_user_sgpr_dispatch_ptr 0
		.amdhsa_user_sgpr_queue_ptr 0
		.amdhsa_user_sgpr_kernarg_segment_ptr 1
		.amdhsa_user_sgpr_dispatch_id 0
		.amdhsa_user_sgpr_flat_scratch_init 0
		.amdhsa_user_sgpr_private_segment_size 0
		.amdhsa_uses_dynamic_stack 0
		.amdhsa_system_sgpr_private_segment_wavefront_offset 0
		.amdhsa_system_sgpr_workgroup_id_x 1
		.amdhsa_system_sgpr_workgroup_id_y 0
		.amdhsa_system_sgpr_workgroup_id_z 0
		.amdhsa_system_sgpr_workgroup_info 0
		.amdhsa_system_vgpr_workitem_id 0
		.amdhsa_next_free_vgpr 3
		.amdhsa_next_free_sgpr 12
		.amdhsa_reserve_vcc 1
		.amdhsa_reserve_flat_scratch 0
		.amdhsa_float_round_mode_32 0
		.amdhsa_float_round_mode_16_64 0
		.amdhsa_float_denorm_mode_32 3
		.amdhsa_float_denorm_mode_16_64 3
		.amdhsa_dx10_clamp 1
		.amdhsa_ieee_mode 1
		.amdhsa_fp16_overflow 0
		.amdhsa_exception_fp_ieee_invalid_op 0
		.amdhsa_exception_fp_denorm_src 0
		.amdhsa_exception_fp_ieee_div_zero 0
		.amdhsa_exception_fp_ieee_overflow 0
		.amdhsa_exception_fp_ieee_underflow 0
		.amdhsa_exception_fp_ieee_inexact 0
		.amdhsa_exception_int_div_zero 0
	.end_amdhsa_kernel
	.section	.text._ZN6thrust23THRUST_200600_302600_NS11hip_rocprim14__parallel_for6kernelILj256ENS1_10for_each_fINS0_17counting_iteratorIiNS0_11use_defaultES6_S6_EENS0_6detail16wrapped_functionI21mark_present_for_eachIiEvEEEElLj1EEEvT0_T1_SF_,"axG",@progbits,_ZN6thrust23THRUST_200600_302600_NS11hip_rocprim14__parallel_for6kernelILj256ENS1_10for_each_fINS0_17counting_iteratorIiNS0_11use_defaultES6_S6_EENS0_6detail16wrapped_functionI21mark_present_for_eachIiEvEEEElLj1EEEvT0_T1_SF_,comdat
.Lfunc_end33:
	.size	_ZN6thrust23THRUST_200600_302600_NS11hip_rocprim14__parallel_for6kernelILj256ENS1_10for_each_fINS0_17counting_iteratorIiNS0_11use_defaultES6_S6_EENS0_6detail16wrapped_functionI21mark_present_for_eachIiEvEEEElLj1EEEvT0_T1_SF_, .Lfunc_end33-_ZN6thrust23THRUST_200600_302600_NS11hip_rocprim14__parallel_for6kernelILj256ENS1_10for_each_fINS0_17counting_iteratorIiNS0_11use_defaultES6_S6_EENS0_6detail16wrapped_functionI21mark_present_for_eachIiEvEEEElLj1EEEvT0_T1_SF_
                                        ; -- End function
	.set _ZN6thrust23THRUST_200600_302600_NS11hip_rocprim14__parallel_for6kernelILj256ENS1_10for_each_fINS0_17counting_iteratorIiNS0_11use_defaultES6_S6_EENS0_6detail16wrapped_functionI21mark_present_for_eachIiEvEEEElLj1EEEvT0_T1_SF_.num_vgpr, 3
	.set _ZN6thrust23THRUST_200600_302600_NS11hip_rocprim14__parallel_for6kernelILj256ENS1_10for_each_fINS0_17counting_iteratorIiNS0_11use_defaultES6_S6_EENS0_6detail16wrapped_functionI21mark_present_for_eachIiEvEEEElLj1EEEvT0_T1_SF_.num_agpr, 0
	.set _ZN6thrust23THRUST_200600_302600_NS11hip_rocprim14__parallel_for6kernelILj256ENS1_10for_each_fINS0_17counting_iteratorIiNS0_11use_defaultES6_S6_EENS0_6detail16wrapped_functionI21mark_present_for_eachIiEvEEEElLj1EEEvT0_T1_SF_.numbered_sgpr, 12
	.set _ZN6thrust23THRUST_200600_302600_NS11hip_rocprim14__parallel_for6kernelILj256ENS1_10for_each_fINS0_17counting_iteratorIiNS0_11use_defaultES6_S6_EENS0_6detail16wrapped_functionI21mark_present_for_eachIiEvEEEElLj1EEEvT0_T1_SF_.num_named_barrier, 0
	.set _ZN6thrust23THRUST_200600_302600_NS11hip_rocprim14__parallel_for6kernelILj256ENS1_10for_each_fINS0_17counting_iteratorIiNS0_11use_defaultES6_S6_EENS0_6detail16wrapped_functionI21mark_present_for_eachIiEvEEEElLj1EEEvT0_T1_SF_.private_seg_size, 0
	.set _ZN6thrust23THRUST_200600_302600_NS11hip_rocprim14__parallel_for6kernelILj256ENS1_10for_each_fINS0_17counting_iteratorIiNS0_11use_defaultES6_S6_EENS0_6detail16wrapped_functionI21mark_present_for_eachIiEvEEEElLj1EEEvT0_T1_SF_.uses_vcc, 1
	.set _ZN6thrust23THRUST_200600_302600_NS11hip_rocprim14__parallel_for6kernelILj256ENS1_10for_each_fINS0_17counting_iteratorIiNS0_11use_defaultES6_S6_EENS0_6detail16wrapped_functionI21mark_present_for_eachIiEvEEEElLj1EEEvT0_T1_SF_.uses_flat_scratch, 0
	.set _ZN6thrust23THRUST_200600_302600_NS11hip_rocprim14__parallel_for6kernelILj256ENS1_10for_each_fINS0_17counting_iteratorIiNS0_11use_defaultES6_S6_EENS0_6detail16wrapped_functionI21mark_present_for_eachIiEvEEEElLj1EEEvT0_T1_SF_.has_dyn_sized_stack, 0
	.set _ZN6thrust23THRUST_200600_302600_NS11hip_rocprim14__parallel_for6kernelILj256ENS1_10for_each_fINS0_17counting_iteratorIiNS0_11use_defaultES6_S6_EENS0_6detail16wrapped_functionI21mark_present_for_eachIiEvEEEElLj1EEEvT0_T1_SF_.has_recursion, 0
	.set _ZN6thrust23THRUST_200600_302600_NS11hip_rocprim14__parallel_for6kernelILj256ENS1_10for_each_fINS0_17counting_iteratorIiNS0_11use_defaultES6_S6_EENS0_6detail16wrapped_functionI21mark_present_for_eachIiEvEEEElLj1EEEvT0_T1_SF_.has_indirect_call, 0
	.section	.AMDGPU.csdata,"",@progbits
; Kernel info:
; codeLenInByte = 152
; TotalNumSgprs: 16
; NumVgprs: 3
; ScratchSize: 0
; MemoryBound: 0
; FloatMode: 240
; IeeeMode: 1
; LDSByteSize: 0 bytes/workgroup (compile time only)
; SGPRBlocks: 1
; VGPRBlocks: 0
; NumSGPRsForWavesPerEU: 16
; NumVGPRsForWavesPerEU: 3
; Occupancy: 10
; WaveLimiterHint : 0
; COMPUTE_PGM_RSRC2:SCRATCH_EN: 0
; COMPUTE_PGM_RSRC2:USER_SGPR: 6
; COMPUTE_PGM_RSRC2:TRAP_HANDLER: 0
; COMPUTE_PGM_RSRC2:TGID_X_EN: 1
; COMPUTE_PGM_RSRC2:TGID_Y_EN: 0
; COMPUTE_PGM_RSRC2:TGID_Z_EN: 0
; COMPUTE_PGM_RSRC2:TIDIG_COMP_CNT: 0
	.section	.text._ZN6thrust23THRUST_200600_302600_NS11hip_rocprim14__parallel_for6kernelILj256ENS1_10for_each_fINS0_17counting_iteratorIiNS0_11use_defaultES6_S6_EENS0_6detail16wrapped_functionI21mark_present_for_eachIiEvEEEEiLj1EEEvT0_T1_SF_,"axG",@progbits,_ZN6thrust23THRUST_200600_302600_NS11hip_rocprim14__parallel_for6kernelILj256ENS1_10for_each_fINS0_17counting_iteratorIiNS0_11use_defaultES6_S6_EENS0_6detail16wrapped_functionI21mark_present_for_eachIiEvEEEEiLj1EEEvT0_T1_SF_,comdat
	.protected	_ZN6thrust23THRUST_200600_302600_NS11hip_rocprim14__parallel_for6kernelILj256ENS1_10for_each_fINS0_17counting_iteratorIiNS0_11use_defaultES6_S6_EENS0_6detail16wrapped_functionI21mark_present_for_eachIiEvEEEEiLj1EEEvT0_T1_SF_ ; -- Begin function _ZN6thrust23THRUST_200600_302600_NS11hip_rocprim14__parallel_for6kernelILj256ENS1_10for_each_fINS0_17counting_iteratorIiNS0_11use_defaultES6_S6_EENS0_6detail16wrapped_functionI21mark_present_for_eachIiEvEEEEiLj1EEEvT0_T1_SF_
	.globl	_ZN6thrust23THRUST_200600_302600_NS11hip_rocprim14__parallel_for6kernelILj256ENS1_10for_each_fINS0_17counting_iteratorIiNS0_11use_defaultES6_S6_EENS0_6detail16wrapped_functionI21mark_present_for_eachIiEvEEEEiLj1EEEvT0_T1_SF_
	.p2align	8
	.type	_ZN6thrust23THRUST_200600_302600_NS11hip_rocprim14__parallel_for6kernelILj256ENS1_10for_each_fINS0_17counting_iteratorIiNS0_11use_defaultES6_S6_EENS0_6detail16wrapped_functionI21mark_present_for_eachIiEvEEEEiLj1EEEvT0_T1_SF_,@function
_ZN6thrust23THRUST_200600_302600_NS11hip_rocprim14__parallel_for6kernelILj256ENS1_10for_each_fINS0_17counting_iteratorIiNS0_11use_defaultES6_S6_EENS0_6detail16wrapped_functionI21mark_present_for_eachIiEvEEEEiLj1EEEvT0_T1_SF_: ; @_ZN6thrust23THRUST_200600_302600_NS11hip_rocprim14__parallel_for6kernelILj256ENS1_10for_each_fINS0_17counting_iteratorIiNS0_11use_defaultES6_S6_EENS0_6detail16wrapped_functionI21mark_present_for_eachIiEvEEEEiLj1EEEvT0_T1_SF_
; %bb.0:
	s_load_dwordx2 s[2:3], s[4:5], 0x10
	s_lshl_b32 s0, s6, 8
	s_waitcnt lgkmcnt(0)
	s_add_i32 s0, s3, s0
	s_sub_i32 s1, s2, s0
	s_cmpk_gt_i32 s1, 0xff
	s_cselect_b64 s[2:3], -1, 0
	v_cmp_gt_u32_e32 vcc, s1, v0
	s_or_b64 s[2:3], s[2:3], vcc
	s_and_saveexec_b64 s[6:7], s[2:3]
	s_cbranch_execz .LBB34_2
; %bb.1:
	s_load_dword s1, s[4:5], 0x0
	s_load_dwordx2 s[2:3], s[4:5], 0x8
	s_waitcnt lgkmcnt(0)
	s_add_i32 s1, s1, s0
	v_add_u32_e32 v0, s1, v0
	v_ashrrev_i32_e32 v1, 31, v0
	v_lshlrev_b64 v[0:1], 2, v[0:1]
	v_mov_b32_e32 v2, s3
	v_add_co_u32_e32 v0, vcc, s2, v0
	v_addc_co_u32_e32 v1, vcc, v2, v1, vcc
	v_mov_b32_e32 v2, 1
	global_store_dword v[0:1], v2, off
.LBB34_2:
	s_endpgm
	.section	.rodata,"a",@progbits
	.p2align	6, 0x0
	.amdhsa_kernel _ZN6thrust23THRUST_200600_302600_NS11hip_rocprim14__parallel_for6kernelILj256ENS1_10for_each_fINS0_17counting_iteratorIiNS0_11use_defaultES6_S6_EENS0_6detail16wrapped_functionI21mark_present_for_eachIiEvEEEEiLj1EEEvT0_T1_SF_
		.amdhsa_group_segment_fixed_size 0
		.amdhsa_private_segment_fixed_size 0
		.amdhsa_kernarg_size 24
		.amdhsa_user_sgpr_count 6
		.amdhsa_user_sgpr_private_segment_buffer 1
		.amdhsa_user_sgpr_dispatch_ptr 0
		.amdhsa_user_sgpr_queue_ptr 0
		.amdhsa_user_sgpr_kernarg_segment_ptr 1
		.amdhsa_user_sgpr_dispatch_id 0
		.amdhsa_user_sgpr_flat_scratch_init 0
		.amdhsa_user_sgpr_private_segment_size 0
		.amdhsa_uses_dynamic_stack 0
		.amdhsa_system_sgpr_private_segment_wavefront_offset 0
		.amdhsa_system_sgpr_workgroup_id_x 1
		.amdhsa_system_sgpr_workgroup_id_y 0
		.amdhsa_system_sgpr_workgroup_id_z 0
		.amdhsa_system_sgpr_workgroup_info 0
		.amdhsa_system_vgpr_workitem_id 0
		.amdhsa_next_free_vgpr 3
		.amdhsa_next_free_sgpr 8
		.amdhsa_reserve_vcc 1
		.amdhsa_reserve_flat_scratch 0
		.amdhsa_float_round_mode_32 0
		.amdhsa_float_round_mode_16_64 0
		.amdhsa_float_denorm_mode_32 3
		.amdhsa_float_denorm_mode_16_64 3
		.amdhsa_dx10_clamp 1
		.amdhsa_ieee_mode 1
		.amdhsa_fp16_overflow 0
		.amdhsa_exception_fp_ieee_invalid_op 0
		.amdhsa_exception_fp_denorm_src 0
		.amdhsa_exception_fp_ieee_div_zero 0
		.amdhsa_exception_fp_ieee_overflow 0
		.amdhsa_exception_fp_ieee_underflow 0
		.amdhsa_exception_fp_ieee_inexact 0
		.amdhsa_exception_int_div_zero 0
	.end_amdhsa_kernel
	.section	.text._ZN6thrust23THRUST_200600_302600_NS11hip_rocprim14__parallel_for6kernelILj256ENS1_10for_each_fINS0_17counting_iteratorIiNS0_11use_defaultES6_S6_EENS0_6detail16wrapped_functionI21mark_present_for_eachIiEvEEEEiLj1EEEvT0_T1_SF_,"axG",@progbits,_ZN6thrust23THRUST_200600_302600_NS11hip_rocprim14__parallel_for6kernelILj256ENS1_10for_each_fINS0_17counting_iteratorIiNS0_11use_defaultES6_S6_EENS0_6detail16wrapped_functionI21mark_present_for_eachIiEvEEEEiLj1EEEvT0_T1_SF_,comdat
.Lfunc_end34:
	.size	_ZN6thrust23THRUST_200600_302600_NS11hip_rocprim14__parallel_for6kernelILj256ENS1_10for_each_fINS0_17counting_iteratorIiNS0_11use_defaultES6_S6_EENS0_6detail16wrapped_functionI21mark_present_for_eachIiEvEEEEiLj1EEEvT0_T1_SF_, .Lfunc_end34-_ZN6thrust23THRUST_200600_302600_NS11hip_rocprim14__parallel_for6kernelILj256ENS1_10for_each_fINS0_17counting_iteratorIiNS0_11use_defaultES6_S6_EENS0_6detail16wrapped_functionI21mark_present_for_eachIiEvEEEEiLj1EEEvT0_T1_SF_
                                        ; -- End function
	.set _ZN6thrust23THRUST_200600_302600_NS11hip_rocprim14__parallel_for6kernelILj256ENS1_10for_each_fINS0_17counting_iteratorIiNS0_11use_defaultES6_S6_EENS0_6detail16wrapped_functionI21mark_present_for_eachIiEvEEEEiLj1EEEvT0_T1_SF_.num_vgpr, 3
	.set _ZN6thrust23THRUST_200600_302600_NS11hip_rocprim14__parallel_for6kernelILj256ENS1_10for_each_fINS0_17counting_iteratorIiNS0_11use_defaultES6_S6_EENS0_6detail16wrapped_functionI21mark_present_for_eachIiEvEEEEiLj1EEEvT0_T1_SF_.num_agpr, 0
	.set _ZN6thrust23THRUST_200600_302600_NS11hip_rocprim14__parallel_for6kernelILj256ENS1_10for_each_fINS0_17counting_iteratorIiNS0_11use_defaultES6_S6_EENS0_6detail16wrapped_functionI21mark_present_for_eachIiEvEEEEiLj1EEEvT0_T1_SF_.numbered_sgpr, 8
	.set _ZN6thrust23THRUST_200600_302600_NS11hip_rocprim14__parallel_for6kernelILj256ENS1_10for_each_fINS0_17counting_iteratorIiNS0_11use_defaultES6_S6_EENS0_6detail16wrapped_functionI21mark_present_for_eachIiEvEEEEiLj1EEEvT0_T1_SF_.num_named_barrier, 0
	.set _ZN6thrust23THRUST_200600_302600_NS11hip_rocprim14__parallel_for6kernelILj256ENS1_10for_each_fINS0_17counting_iteratorIiNS0_11use_defaultES6_S6_EENS0_6detail16wrapped_functionI21mark_present_for_eachIiEvEEEEiLj1EEEvT0_T1_SF_.private_seg_size, 0
	.set _ZN6thrust23THRUST_200600_302600_NS11hip_rocprim14__parallel_for6kernelILj256ENS1_10for_each_fINS0_17counting_iteratorIiNS0_11use_defaultES6_S6_EENS0_6detail16wrapped_functionI21mark_present_for_eachIiEvEEEEiLj1EEEvT0_T1_SF_.uses_vcc, 1
	.set _ZN6thrust23THRUST_200600_302600_NS11hip_rocprim14__parallel_for6kernelILj256ENS1_10for_each_fINS0_17counting_iteratorIiNS0_11use_defaultES6_S6_EENS0_6detail16wrapped_functionI21mark_present_for_eachIiEvEEEEiLj1EEEvT0_T1_SF_.uses_flat_scratch, 0
	.set _ZN6thrust23THRUST_200600_302600_NS11hip_rocprim14__parallel_for6kernelILj256ENS1_10for_each_fINS0_17counting_iteratorIiNS0_11use_defaultES6_S6_EENS0_6detail16wrapped_functionI21mark_present_for_eachIiEvEEEEiLj1EEEvT0_T1_SF_.has_dyn_sized_stack, 0
	.set _ZN6thrust23THRUST_200600_302600_NS11hip_rocprim14__parallel_for6kernelILj256ENS1_10for_each_fINS0_17counting_iteratorIiNS0_11use_defaultES6_S6_EENS0_6detail16wrapped_functionI21mark_present_for_eachIiEvEEEEiLj1EEEvT0_T1_SF_.has_recursion, 0
	.set _ZN6thrust23THRUST_200600_302600_NS11hip_rocprim14__parallel_for6kernelILj256ENS1_10for_each_fINS0_17counting_iteratorIiNS0_11use_defaultES6_S6_EENS0_6detail16wrapped_functionI21mark_present_for_eachIiEvEEEEiLj1EEEvT0_T1_SF_.has_indirect_call, 0
	.section	.AMDGPU.csdata,"",@progbits
; Kernel info:
; codeLenInByte = 116
; TotalNumSgprs: 12
; NumVgprs: 3
; ScratchSize: 0
; MemoryBound: 0
; FloatMode: 240
; IeeeMode: 1
; LDSByteSize: 0 bytes/workgroup (compile time only)
; SGPRBlocks: 1
; VGPRBlocks: 0
; NumSGPRsForWavesPerEU: 12
; NumVGPRsForWavesPerEU: 3
; Occupancy: 10
; WaveLimiterHint : 0
; COMPUTE_PGM_RSRC2:SCRATCH_EN: 0
; COMPUTE_PGM_RSRC2:USER_SGPR: 6
; COMPUTE_PGM_RSRC2:TRAP_HANDLER: 0
; COMPUTE_PGM_RSRC2:TGID_X_EN: 1
; COMPUTE_PGM_RSRC2:TGID_Y_EN: 0
; COMPUTE_PGM_RSRC2:TGID_Z_EN: 0
; COMPUTE_PGM_RSRC2:TIDIG_COMP_CNT: 0
	.section	.text._ZN6thrust23THRUST_200600_302600_NS11hip_rocprim14__parallel_for6kernelILj256ENS1_10for_each_fINS0_10device_ptrI11FixedVectorIiLj1EEEENS0_6detail16wrapped_functionINS9_23allocator_traits_detail5gozerEvEEEElLj1EEEvT0_T1_SG_,"axG",@progbits,_ZN6thrust23THRUST_200600_302600_NS11hip_rocprim14__parallel_for6kernelILj256ENS1_10for_each_fINS0_10device_ptrI11FixedVectorIiLj1EEEENS0_6detail16wrapped_functionINS9_23allocator_traits_detail5gozerEvEEEElLj1EEEvT0_T1_SG_,comdat
	.protected	_ZN6thrust23THRUST_200600_302600_NS11hip_rocprim14__parallel_for6kernelILj256ENS1_10for_each_fINS0_10device_ptrI11FixedVectorIiLj1EEEENS0_6detail16wrapped_functionINS9_23allocator_traits_detail5gozerEvEEEElLj1EEEvT0_T1_SG_ ; -- Begin function _ZN6thrust23THRUST_200600_302600_NS11hip_rocprim14__parallel_for6kernelILj256ENS1_10for_each_fINS0_10device_ptrI11FixedVectorIiLj1EEEENS0_6detail16wrapped_functionINS9_23allocator_traits_detail5gozerEvEEEElLj1EEEvT0_T1_SG_
	.globl	_ZN6thrust23THRUST_200600_302600_NS11hip_rocprim14__parallel_for6kernelILj256ENS1_10for_each_fINS0_10device_ptrI11FixedVectorIiLj1EEEENS0_6detail16wrapped_functionINS9_23allocator_traits_detail5gozerEvEEEElLj1EEEvT0_T1_SG_
	.p2align	8
	.type	_ZN6thrust23THRUST_200600_302600_NS11hip_rocprim14__parallel_for6kernelILj256ENS1_10for_each_fINS0_10device_ptrI11FixedVectorIiLj1EEEENS0_6detail16wrapped_functionINS9_23allocator_traits_detail5gozerEvEEEElLj1EEEvT0_T1_SG_,@function
_ZN6thrust23THRUST_200600_302600_NS11hip_rocprim14__parallel_for6kernelILj256ENS1_10for_each_fINS0_10device_ptrI11FixedVectorIiLj1EEEENS0_6detail16wrapped_functionINS9_23allocator_traits_detail5gozerEvEEEElLj1EEEvT0_T1_SG_: ; @_ZN6thrust23THRUST_200600_302600_NS11hip_rocprim14__parallel_for6kernelILj256ENS1_10for_each_fINS0_10device_ptrI11FixedVectorIiLj1EEEENS0_6detail16wrapped_functionINS9_23allocator_traits_detail5gozerEvEEEElLj1EEEvT0_T1_SG_
; %bb.0:
	s_endpgm
	.section	.rodata,"a",@progbits
	.p2align	6, 0x0
	.amdhsa_kernel _ZN6thrust23THRUST_200600_302600_NS11hip_rocprim14__parallel_for6kernelILj256ENS1_10for_each_fINS0_10device_ptrI11FixedVectorIiLj1EEEENS0_6detail16wrapped_functionINS9_23allocator_traits_detail5gozerEvEEEElLj1EEEvT0_T1_SG_
		.amdhsa_group_segment_fixed_size 0
		.amdhsa_private_segment_fixed_size 0
		.amdhsa_kernarg_size 32
		.amdhsa_user_sgpr_count 6
		.amdhsa_user_sgpr_private_segment_buffer 1
		.amdhsa_user_sgpr_dispatch_ptr 0
		.amdhsa_user_sgpr_queue_ptr 0
		.amdhsa_user_sgpr_kernarg_segment_ptr 1
		.amdhsa_user_sgpr_dispatch_id 0
		.amdhsa_user_sgpr_flat_scratch_init 0
		.amdhsa_user_sgpr_private_segment_size 0
		.amdhsa_uses_dynamic_stack 0
		.amdhsa_system_sgpr_private_segment_wavefront_offset 0
		.amdhsa_system_sgpr_workgroup_id_x 1
		.amdhsa_system_sgpr_workgroup_id_y 0
		.amdhsa_system_sgpr_workgroup_id_z 0
		.amdhsa_system_sgpr_workgroup_info 0
		.amdhsa_system_vgpr_workitem_id 0
		.amdhsa_next_free_vgpr 1
		.amdhsa_next_free_sgpr 0
		.amdhsa_reserve_vcc 0
		.amdhsa_reserve_flat_scratch 0
		.amdhsa_float_round_mode_32 0
		.amdhsa_float_round_mode_16_64 0
		.amdhsa_float_denorm_mode_32 3
		.amdhsa_float_denorm_mode_16_64 3
		.amdhsa_dx10_clamp 1
		.amdhsa_ieee_mode 1
		.amdhsa_fp16_overflow 0
		.amdhsa_exception_fp_ieee_invalid_op 0
		.amdhsa_exception_fp_denorm_src 0
		.amdhsa_exception_fp_ieee_div_zero 0
		.amdhsa_exception_fp_ieee_overflow 0
		.amdhsa_exception_fp_ieee_underflow 0
		.amdhsa_exception_fp_ieee_inexact 0
		.amdhsa_exception_int_div_zero 0
	.end_amdhsa_kernel
	.section	.text._ZN6thrust23THRUST_200600_302600_NS11hip_rocprim14__parallel_for6kernelILj256ENS1_10for_each_fINS0_10device_ptrI11FixedVectorIiLj1EEEENS0_6detail16wrapped_functionINS9_23allocator_traits_detail5gozerEvEEEElLj1EEEvT0_T1_SG_,"axG",@progbits,_ZN6thrust23THRUST_200600_302600_NS11hip_rocprim14__parallel_for6kernelILj256ENS1_10for_each_fINS0_10device_ptrI11FixedVectorIiLj1EEEENS0_6detail16wrapped_functionINS9_23allocator_traits_detail5gozerEvEEEElLj1EEEvT0_T1_SG_,comdat
.Lfunc_end35:
	.size	_ZN6thrust23THRUST_200600_302600_NS11hip_rocprim14__parallel_for6kernelILj256ENS1_10for_each_fINS0_10device_ptrI11FixedVectorIiLj1EEEENS0_6detail16wrapped_functionINS9_23allocator_traits_detail5gozerEvEEEElLj1EEEvT0_T1_SG_, .Lfunc_end35-_ZN6thrust23THRUST_200600_302600_NS11hip_rocprim14__parallel_for6kernelILj256ENS1_10for_each_fINS0_10device_ptrI11FixedVectorIiLj1EEEENS0_6detail16wrapped_functionINS9_23allocator_traits_detail5gozerEvEEEElLj1EEEvT0_T1_SG_
                                        ; -- End function
	.set _ZN6thrust23THRUST_200600_302600_NS11hip_rocprim14__parallel_for6kernelILj256ENS1_10for_each_fINS0_10device_ptrI11FixedVectorIiLj1EEEENS0_6detail16wrapped_functionINS9_23allocator_traits_detail5gozerEvEEEElLj1EEEvT0_T1_SG_.num_vgpr, 0
	.set _ZN6thrust23THRUST_200600_302600_NS11hip_rocprim14__parallel_for6kernelILj256ENS1_10for_each_fINS0_10device_ptrI11FixedVectorIiLj1EEEENS0_6detail16wrapped_functionINS9_23allocator_traits_detail5gozerEvEEEElLj1EEEvT0_T1_SG_.num_agpr, 0
	.set _ZN6thrust23THRUST_200600_302600_NS11hip_rocprim14__parallel_for6kernelILj256ENS1_10for_each_fINS0_10device_ptrI11FixedVectorIiLj1EEEENS0_6detail16wrapped_functionINS9_23allocator_traits_detail5gozerEvEEEElLj1EEEvT0_T1_SG_.numbered_sgpr, 0
	.set _ZN6thrust23THRUST_200600_302600_NS11hip_rocprim14__parallel_for6kernelILj256ENS1_10for_each_fINS0_10device_ptrI11FixedVectorIiLj1EEEENS0_6detail16wrapped_functionINS9_23allocator_traits_detail5gozerEvEEEElLj1EEEvT0_T1_SG_.num_named_barrier, 0
	.set _ZN6thrust23THRUST_200600_302600_NS11hip_rocprim14__parallel_for6kernelILj256ENS1_10for_each_fINS0_10device_ptrI11FixedVectorIiLj1EEEENS0_6detail16wrapped_functionINS9_23allocator_traits_detail5gozerEvEEEElLj1EEEvT0_T1_SG_.private_seg_size, 0
	.set _ZN6thrust23THRUST_200600_302600_NS11hip_rocprim14__parallel_for6kernelILj256ENS1_10for_each_fINS0_10device_ptrI11FixedVectorIiLj1EEEENS0_6detail16wrapped_functionINS9_23allocator_traits_detail5gozerEvEEEElLj1EEEvT0_T1_SG_.uses_vcc, 0
	.set _ZN6thrust23THRUST_200600_302600_NS11hip_rocprim14__parallel_for6kernelILj256ENS1_10for_each_fINS0_10device_ptrI11FixedVectorIiLj1EEEENS0_6detail16wrapped_functionINS9_23allocator_traits_detail5gozerEvEEEElLj1EEEvT0_T1_SG_.uses_flat_scratch, 0
	.set _ZN6thrust23THRUST_200600_302600_NS11hip_rocprim14__parallel_for6kernelILj256ENS1_10for_each_fINS0_10device_ptrI11FixedVectorIiLj1EEEENS0_6detail16wrapped_functionINS9_23allocator_traits_detail5gozerEvEEEElLj1EEEvT0_T1_SG_.has_dyn_sized_stack, 0
	.set _ZN6thrust23THRUST_200600_302600_NS11hip_rocprim14__parallel_for6kernelILj256ENS1_10for_each_fINS0_10device_ptrI11FixedVectorIiLj1EEEENS0_6detail16wrapped_functionINS9_23allocator_traits_detail5gozerEvEEEElLj1EEEvT0_T1_SG_.has_recursion, 0
	.set _ZN6thrust23THRUST_200600_302600_NS11hip_rocprim14__parallel_for6kernelILj256ENS1_10for_each_fINS0_10device_ptrI11FixedVectorIiLj1EEEENS0_6detail16wrapped_functionINS9_23allocator_traits_detail5gozerEvEEEElLj1EEEvT0_T1_SG_.has_indirect_call, 0
	.section	.AMDGPU.csdata,"",@progbits
; Kernel info:
; codeLenInByte = 4
; TotalNumSgprs: 4
; NumVgprs: 0
; ScratchSize: 0
; MemoryBound: 0
; FloatMode: 240
; IeeeMode: 1
; LDSByteSize: 0 bytes/workgroup (compile time only)
; SGPRBlocks: 0
; VGPRBlocks: 0
; NumSGPRsForWavesPerEU: 4
; NumVGPRsForWavesPerEU: 1
; Occupancy: 10
; WaveLimiterHint : 0
; COMPUTE_PGM_RSRC2:SCRATCH_EN: 0
; COMPUTE_PGM_RSRC2:USER_SGPR: 6
; COMPUTE_PGM_RSRC2:TRAP_HANDLER: 0
; COMPUTE_PGM_RSRC2:TGID_X_EN: 1
; COMPUTE_PGM_RSRC2:TGID_Y_EN: 0
; COMPUTE_PGM_RSRC2:TGID_Z_EN: 0
; COMPUTE_PGM_RSRC2:TIDIG_COMP_CNT: 0
	.section	.text._ZN6thrust23THRUST_200600_302600_NS11hip_rocprim14__parallel_for6kernelILj256ENS1_10for_each_fINS0_6detail15normal_iteratorINS0_10device_ptrI11FixedVectorIiLj1EEEEEENS5_16wrapped_functionI24SetFixedVectorToConstantIiLj1EEvEEEElLj1EEEvT0_T1_SI_,"axG",@progbits,_ZN6thrust23THRUST_200600_302600_NS11hip_rocprim14__parallel_for6kernelILj256ENS1_10for_each_fINS0_6detail15normal_iteratorINS0_10device_ptrI11FixedVectorIiLj1EEEEEENS5_16wrapped_functionI24SetFixedVectorToConstantIiLj1EEvEEEElLj1EEEvT0_T1_SI_,comdat
	.protected	_ZN6thrust23THRUST_200600_302600_NS11hip_rocprim14__parallel_for6kernelILj256ENS1_10for_each_fINS0_6detail15normal_iteratorINS0_10device_ptrI11FixedVectorIiLj1EEEEEENS5_16wrapped_functionI24SetFixedVectorToConstantIiLj1EEvEEEElLj1EEEvT0_T1_SI_ ; -- Begin function _ZN6thrust23THRUST_200600_302600_NS11hip_rocprim14__parallel_for6kernelILj256ENS1_10for_each_fINS0_6detail15normal_iteratorINS0_10device_ptrI11FixedVectorIiLj1EEEEEENS5_16wrapped_functionI24SetFixedVectorToConstantIiLj1EEvEEEElLj1EEEvT0_T1_SI_
	.globl	_ZN6thrust23THRUST_200600_302600_NS11hip_rocprim14__parallel_for6kernelILj256ENS1_10for_each_fINS0_6detail15normal_iteratorINS0_10device_ptrI11FixedVectorIiLj1EEEEEENS5_16wrapped_functionI24SetFixedVectorToConstantIiLj1EEvEEEElLj1EEEvT0_T1_SI_
	.p2align	8
	.type	_ZN6thrust23THRUST_200600_302600_NS11hip_rocprim14__parallel_for6kernelILj256ENS1_10for_each_fINS0_6detail15normal_iteratorINS0_10device_ptrI11FixedVectorIiLj1EEEEEENS5_16wrapped_functionI24SetFixedVectorToConstantIiLj1EEvEEEElLj1EEEvT0_T1_SI_,@function
_ZN6thrust23THRUST_200600_302600_NS11hip_rocprim14__parallel_for6kernelILj256ENS1_10for_each_fINS0_6detail15normal_iteratorINS0_10device_ptrI11FixedVectorIiLj1EEEEEENS5_16wrapped_functionI24SetFixedVectorToConstantIiLj1EEvEEEElLj1EEEvT0_T1_SI_: ; @_ZN6thrust23THRUST_200600_302600_NS11hip_rocprim14__parallel_for6kernelILj256ENS1_10for_each_fINS0_6detail15normal_iteratorINS0_10device_ptrI11FixedVectorIiLj1EEEEEENS5_16wrapped_functionI24SetFixedVectorToConstantIiLj1EEvEEEElLj1EEEvT0_T1_SI_
; %bb.0:
	s_load_dwordx4 s[8:11], s[4:5], 0x10
	s_lshl_b32 s0, s6, 8
	v_mov_b32_e32 v1, 0x100
	v_mov_b32_e32 v2, 0
	s_load_dwordx2 s[2:3], s[4:5], 0x0
	s_load_dword s6, s[4:5], 0x8
	s_waitcnt lgkmcnt(0)
	s_add_u32 s0, s10, s0
	s_addc_u32 s1, s11, 0
	s_sub_u32 s8, s8, s0
	s_subb_u32 s9, s9, s1
	v_cmp_lt_i64_e32 vcc, s[8:9], v[1:2]
	s_and_b64 s[4:5], vcc, exec
	s_cselect_b32 s7, s8, 0x100
	s_cmpk_eq_i32 s7, 0x100
	s_mov_b64 s[4:5], -1
	s_cbranch_scc0 .LBB36_3
; %bb.1:
	s_andn2_b64 vcc, exec, s[4:5]
	s_cbranch_vccz .LBB36_6
.LBB36_2:
	s_endpgm
.LBB36_3:
	v_cmp_gt_u32_e32 vcc, s7, v0
	s_and_saveexec_b64 s[4:5], vcc
	s_cbranch_execz .LBB36_5
; %bb.4:
	s_lshl_b64 s[8:9], s[0:1], 2
	s_add_u32 s7, s2, s8
	s_addc_u32 s8, s3, s9
	v_lshlrev_b32_e32 v1, 2, v0
	v_mov_b32_e32 v2, s8
	v_add_co_u32_e32 v1, vcc, s7, v1
	v_addc_co_u32_e32 v2, vcc, 0, v2, vcc
	v_mov_b32_e32 v3, s6
	flat_store_dword v[1:2], v3
.LBB36_5:
	s_or_b64 exec, exec, s[4:5]
	s_cbranch_execnz .LBB36_2
.LBB36_6:
	s_lshl_b64 s[0:1], s[0:1], 2
	s_add_u32 s0, s2, s0
	s_addc_u32 s1, s3, s1
	v_lshlrev_b32_e32 v0, 2, v0
	v_mov_b32_e32 v1, s1
	v_add_co_u32_e32 v0, vcc, s0, v0
	v_addc_co_u32_e32 v1, vcc, 0, v1, vcc
	v_mov_b32_e32 v2, s6
	flat_store_dword v[0:1], v2
	s_endpgm
	.section	.rodata,"a",@progbits
	.p2align	6, 0x0
	.amdhsa_kernel _ZN6thrust23THRUST_200600_302600_NS11hip_rocprim14__parallel_for6kernelILj256ENS1_10for_each_fINS0_6detail15normal_iteratorINS0_10device_ptrI11FixedVectorIiLj1EEEEEENS5_16wrapped_functionI24SetFixedVectorToConstantIiLj1EEvEEEElLj1EEEvT0_T1_SI_
		.amdhsa_group_segment_fixed_size 0
		.amdhsa_private_segment_fixed_size 0
		.amdhsa_kernarg_size 32
		.amdhsa_user_sgpr_count 6
		.amdhsa_user_sgpr_private_segment_buffer 1
		.amdhsa_user_sgpr_dispatch_ptr 0
		.amdhsa_user_sgpr_queue_ptr 0
		.amdhsa_user_sgpr_kernarg_segment_ptr 1
		.amdhsa_user_sgpr_dispatch_id 0
		.amdhsa_user_sgpr_flat_scratch_init 0
		.amdhsa_user_sgpr_private_segment_size 0
		.amdhsa_uses_dynamic_stack 0
		.amdhsa_system_sgpr_private_segment_wavefront_offset 0
		.amdhsa_system_sgpr_workgroup_id_x 1
		.amdhsa_system_sgpr_workgroup_id_y 0
		.amdhsa_system_sgpr_workgroup_id_z 0
		.amdhsa_system_sgpr_workgroup_info 0
		.amdhsa_system_vgpr_workitem_id 0
		.amdhsa_next_free_vgpr 4
		.amdhsa_next_free_sgpr 12
		.amdhsa_reserve_vcc 1
		.amdhsa_reserve_flat_scratch 0
		.amdhsa_float_round_mode_32 0
		.amdhsa_float_round_mode_16_64 0
		.amdhsa_float_denorm_mode_32 3
		.amdhsa_float_denorm_mode_16_64 3
		.amdhsa_dx10_clamp 1
		.amdhsa_ieee_mode 1
		.amdhsa_fp16_overflow 0
		.amdhsa_exception_fp_ieee_invalid_op 0
		.amdhsa_exception_fp_denorm_src 0
		.amdhsa_exception_fp_ieee_div_zero 0
		.amdhsa_exception_fp_ieee_overflow 0
		.amdhsa_exception_fp_ieee_underflow 0
		.amdhsa_exception_fp_ieee_inexact 0
		.amdhsa_exception_int_div_zero 0
	.end_amdhsa_kernel
	.section	.text._ZN6thrust23THRUST_200600_302600_NS11hip_rocprim14__parallel_for6kernelILj256ENS1_10for_each_fINS0_6detail15normal_iteratorINS0_10device_ptrI11FixedVectorIiLj1EEEEEENS5_16wrapped_functionI24SetFixedVectorToConstantIiLj1EEvEEEElLj1EEEvT0_T1_SI_,"axG",@progbits,_ZN6thrust23THRUST_200600_302600_NS11hip_rocprim14__parallel_for6kernelILj256ENS1_10for_each_fINS0_6detail15normal_iteratorINS0_10device_ptrI11FixedVectorIiLj1EEEEEENS5_16wrapped_functionI24SetFixedVectorToConstantIiLj1EEvEEEElLj1EEEvT0_T1_SI_,comdat
.Lfunc_end36:
	.size	_ZN6thrust23THRUST_200600_302600_NS11hip_rocprim14__parallel_for6kernelILj256ENS1_10for_each_fINS0_6detail15normal_iteratorINS0_10device_ptrI11FixedVectorIiLj1EEEEEENS5_16wrapped_functionI24SetFixedVectorToConstantIiLj1EEvEEEElLj1EEEvT0_T1_SI_, .Lfunc_end36-_ZN6thrust23THRUST_200600_302600_NS11hip_rocprim14__parallel_for6kernelILj256ENS1_10for_each_fINS0_6detail15normal_iteratorINS0_10device_ptrI11FixedVectorIiLj1EEEEEENS5_16wrapped_functionI24SetFixedVectorToConstantIiLj1EEvEEEElLj1EEEvT0_T1_SI_
                                        ; -- End function
	.set _ZN6thrust23THRUST_200600_302600_NS11hip_rocprim14__parallel_for6kernelILj256ENS1_10for_each_fINS0_6detail15normal_iteratorINS0_10device_ptrI11FixedVectorIiLj1EEEEEENS5_16wrapped_functionI24SetFixedVectorToConstantIiLj1EEvEEEElLj1EEEvT0_T1_SI_.num_vgpr, 4
	.set _ZN6thrust23THRUST_200600_302600_NS11hip_rocprim14__parallel_for6kernelILj256ENS1_10for_each_fINS0_6detail15normal_iteratorINS0_10device_ptrI11FixedVectorIiLj1EEEEEENS5_16wrapped_functionI24SetFixedVectorToConstantIiLj1EEvEEEElLj1EEEvT0_T1_SI_.num_agpr, 0
	.set _ZN6thrust23THRUST_200600_302600_NS11hip_rocprim14__parallel_for6kernelILj256ENS1_10for_each_fINS0_6detail15normal_iteratorINS0_10device_ptrI11FixedVectorIiLj1EEEEEENS5_16wrapped_functionI24SetFixedVectorToConstantIiLj1EEvEEEElLj1EEEvT0_T1_SI_.numbered_sgpr, 12
	.set _ZN6thrust23THRUST_200600_302600_NS11hip_rocprim14__parallel_for6kernelILj256ENS1_10for_each_fINS0_6detail15normal_iteratorINS0_10device_ptrI11FixedVectorIiLj1EEEEEENS5_16wrapped_functionI24SetFixedVectorToConstantIiLj1EEvEEEElLj1EEEvT0_T1_SI_.num_named_barrier, 0
	.set _ZN6thrust23THRUST_200600_302600_NS11hip_rocprim14__parallel_for6kernelILj256ENS1_10for_each_fINS0_6detail15normal_iteratorINS0_10device_ptrI11FixedVectorIiLj1EEEEEENS5_16wrapped_functionI24SetFixedVectorToConstantIiLj1EEvEEEElLj1EEEvT0_T1_SI_.private_seg_size, 0
	.set _ZN6thrust23THRUST_200600_302600_NS11hip_rocprim14__parallel_for6kernelILj256ENS1_10for_each_fINS0_6detail15normal_iteratorINS0_10device_ptrI11FixedVectorIiLj1EEEEEENS5_16wrapped_functionI24SetFixedVectorToConstantIiLj1EEvEEEElLj1EEEvT0_T1_SI_.uses_vcc, 1
	.set _ZN6thrust23THRUST_200600_302600_NS11hip_rocprim14__parallel_for6kernelILj256ENS1_10for_each_fINS0_6detail15normal_iteratorINS0_10device_ptrI11FixedVectorIiLj1EEEEEENS5_16wrapped_functionI24SetFixedVectorToConstantIiLj1EEvEEEElLj1EEEvT0_T1_SI_.uses_flat_scratch, 0
	.set _ZN6thrust23THRUST_200600_302600_NS11hip_rocprim14__parallel_for6kernelILj256ENS1_10for_each_fINS0_6detail15normal_iteratorINS0_10device_ptrI11FixedVectorIiLj1EEEEEENS5_16wrapped_functionI24SetFixedVectorToConstantIiLj1EEvEEEElLj1EEEvT0_T1_SI_.has_dyn_sized_stack, 0
	.set _ZN6thrust23THRUST_200600_302600_NS11hip_rocprim14__parallel_for6kernelILj256ENS1_10for_each_fINS0_6detail15normal_iteratorINS0_10device_ptrI11FixedVectorIiLj1EEEEEENS5_16wrapped_functionI24SetFixedVectorToConstantIiLj1EEvEEEElLj1EEEvT0_T1_SI_.has_recursion, 0
	.set _ZN6thrust23THRUST_200600_302600_NS11hip_rocprim14__parallel_for6kernelILj256ENS1_10for_each_fINS0_6detail15normal_iteratorINS0_10device_ptrI11FixedVectorIiLj1EEEEEENS5_16wrapped_functionI24SetFixedVectorToConstantIiLj1EEvEEEElLj1EEEvT0_T1_SI_.has_indirect_call, 0
	.section	.AMDGPU.csdata,"",@progbits
; Kernel info:
; codeLenInByte = 204
; TotalNumSgprs: 16
; NumVgprs: 4
; ScratchSize: 0
; MemoryBound: 0
; FloatMode: 240
; IeeeMode: 1
; LDSByteSize: 0 bytes/workgroup (compile time only)
; SGPRBlocks: 1
; VGPRBlocks: 0
; NumSGPRsForWavesPerEU: 16
; NumVGPRsForWavesPerEU: 4
; Occupancy: 10
; WaveLimiterHint : 0
; COMPUTE_PGM_RSRC2:SCRATCH_EN: 0
; COMPUTE_PGM_RSRC2:USER_SGPR: 6
; COMPUTE_PGM_RSRC2:TRAP_HANDLER: 0
; COMPUTE_PGM_RSRC2:TGID_X_EN: 1
; COMPUTE_PGM_RSRC2:TGID_Y_EN: 0
; COMPUTE_PGM_RSRC2:TGID_Z_EN: 0
; COMPUTE_PGM_RSRC2:TIDIG_COMP_CNT: 0
	.section	.text._ZN6thrust23THRUST_200600_302600_NS11hip_rocprim14__parallel_for6kernelILj256ENS1_10for_each_fINS0_10device_ptrI11FixedVectorIiLj2EEEENS0_6detail16wrapped_functionINS9_23allocator_traits_detail5gozerEvEEEElLj1EEEvT0_T1_SG_,"axG",@progbits,_ZN6thrust23THRUST_200600_302600_NS11hip_rocprim14__parallel_for6kernelILj256ENS1_10for_each_fINS0_10device_ptrI11FixedVectorIiLj2EEEENS0_6detail16wrapped_functionINS9_23allocator_traits_detail5gozerEvEEEElLj1EEEvT0_T1_SG_,comdat
	.protected	_ZN6thrust23THRUST_200600_302600_NS11hip_rocprim14__parallel_for6kernelILj256ENS1_10for_each_fINS0_10device_ptrI11FixedVectorIiLj2EEEENS0_6detail16wrapped_functionINS9_23allocator_traits_detail5gozerEvEEEElLj1EEEvT0_T1_SG_ ; -- Begin function _ZN6thrust23THRUST_200600_302600_NS11hip_rocprim14__parallel_for6kernelILj256ENS1_10for_each_fINS0_10device_ptrI11FixedVectorIiLj2EEEENS0_6detail16wrapped_functionINS9_23allocator_traits_detail5gozerEvEEEElLj1EEEvT0_T1_SG_
	.globl	_ZN6thrust23THRUST_200600_302600_NS11hip_rocprim14__parallel_for6kernelILj256ENS1_10for_each_fINS0_10device_ptrI11FixedVectorIiLj2EEEENS0_6detail16wrapped_functionINS9_23allocator_traits_detail5gozerEvEEEElLj1EEEvT0_T1_SG_
	.p2align	8
	.type	_ZN6thrust23THRUST_200600_302600_NS11hip_rocprim14__parallel_for6kernelILj256ENS1_10for_each_fINS0_10device_ptrI11FixedVectorIiLj2EEEENS0_6detail16wrapped_functionINS9_23allocator_traits_detail5gozerEvEEEElLj1EEEvT0_T1_SG_,@function
_ZN6thrust23THRUST_200600_302600_NS11hip_rocprim14__parallel_for6kernelILj256ENS1_10for_each_fINS0_10device_ptrI11FixedVectorIiLj2EEEENS0_6detail16wrapped_functionINS9_23allocator_traits_detail5gozerEvEEEElLj1EEEvT0_T1_SG_: ; @_ZN6thrust23THRUST_200600_302600_NS11hip_rocprim14__parallel_for6kernelILj256ENS1_10for_each_fINS0_10device_ptrI11FixedVectorIiLj2EEEENS0_6detail16wrapped_functionINS9_23allocator_traits_detail5gozerEvEEEElLj1EEEvT0_T1_SG_
; %bb.0:
	s_endpgm
	.section	.rodata,"a",@progbits
	.p2align	6, 0x0
	.amdhsa_kernel _ZN6thrust23THRUST_200600_302600_NS11hip_rocprim14__parallel_for6kernelILj256ENS1_10for_each_fINS0_10device_ptrI11FixedVectorIiLj2EEEENS0_6detail16wrapped_functionINS9_23allocator_traits_detail5gozerEvEEEElLj1EEEvT0_T1_SG_
		.amdhsa_group_segment_fixed_size 0
		.amdhsa_private_segment_fixed_size 0
		.amdhsa_kernarg_size 32
		.amdhsa_user_sgpr_count 6
		.amdhsa_user_sgpr_private_segment_buffer 1
		.amdhsa_user_sgpr_dispatch_ptr 0
		.amdhsa_user_sgpr_queue_ptr 0
		.amdhsa_user_sgpr_kernarg_segment_ptr 1
		.amdhsa_user_sgpr_dispatch_id 0
		.amdhsa_user_sgpr_flat_scratch_init 0
		.amdhsa_user_sgpr_private_segment_size 0
		.amdhsa_uses_dynamic_stack 0
		.amdhsa_system_sgpr_private_segment_wavefront_offset 0
		.amdhsa_system_sgpr_workgroup_id_x 1
		.amdhsa_system_sgpr_workgroup_id_y 0
		.amdhsa_system_sgpr_workgroup_id_z 0
		.amdhsa_system_sgpr_workgroup_info 0
		.amdhsa_system_vgpr_workitem_id 0
		.amdhsa_next_free_vgpr 1
		.amdhsa_next_free_sgpr 0
		.amdhsa_reserve_vcc 0
		.amdhsa_reserve_flat_scratch 0
		.amdhsa_float_round_mode_32 0
		.amdhsa_float_round_mode_16_64 0
		.amdhsa_float_denorm_mode_32 3
		.amdhsa_float_denorm_mode_16_64 3
		.amdhsa_dx10_clamp 1
		.amdhsa_ieee_mode 1
		.amdhsa_fp16_overflow 0
		.amdhsa_exception_fp_ieee_invalid_op 0
		.amdhsa_exception_fp_denorm_src 0
		.amdhsa_exception_fp_ieee_div_zero 0
		.amdhsa_exception_fp_ieee_overflow 0
		.amdhsa_exception_fp_ieee_underflow 0
		.amdhsa_exception_fp_ieee_inexact 0
		.amdhsa_exception_int_div_zero 0
	.end_amdhsa_kernel
	.section	.text._ZN6thrust23THRUST_200600_302600_NS11hip_rocprim14__parallel_for6kernelILj256ENS1_10for_each_fINS0_10device_ptrI11FixedVectorIiLj2EEEENS0_6detail16wrapped_functionINS9_23allocator_traits_detail5gozerEvEEEElLj1EEEvT0_T1_SG_,"axG",@progbits,_ZN6thrust23THRUST_200600_302600_NS11hip_rocprim14__parallel_for6kernelILj256ENS1_10for_each_fINS0_10device_ptrI11FixedVectorIiLj2EEEENS0_6detail16wrapped_functionINS9_23allocator_traits_detail5gozerEvEEEElLj1EEEvT0_T1_SG_,comdat
.Lfunc_end37:
	.size	_ZN6thrust23THRUST_200600_302600_NS11hip_rocprim14__parallel_for6kernelILj256ENS1_10for_each_fINS0_10device_ptrI11FixedVectorIiLj2EEEENS0_6detail16wrapped_functionINS9_23allocator_traits_detail5gozerEvEEEElLj1EEEvT0_T1_SG_, .Lfunc_end37-_ZN6thrust23THRUST_200600_302600_NS11hip_rocprim14__parallel_for6kernelILj256ENS1_10for_each_fINS0_10device_ptrI11FixedVectorIiLj2EEEENS0_6detail16wrapped_functionINS9_23allocator_traits_detail5gozerEvEEEElLj1EEEvT0_T1_SG_
                                        ; -- End function
	.set _ZN6thrust23THRUST_200600_302600_NS11hip_rocprim14__parallel_for6kernelILj256ENS1_10for_each_fINS0_10device_ptrI11FixedVectorIiLj2EEEENS0_6detail16wrapped_functionINS9_23allocator_traits_detail5gozerEvEEEElLj1EEEvT0_T1_SG_.num_vgpr, 0
	.set _ZN6thrust23THRUST_200600_302600_NS11hip_rocprim14__parallel_for6kernelILj256ENS1_10for_each_fINS0_10device_ptrI11FixedVectorIiLj2EEEENS0_6detail16wrapped_functionINS9_23allocator_traits_detail5gozerEvEEEElLj1EEEvT0_T1_SG_.num_agpr, 0
	.set _ZN6thrust23THRUST_200600_302600_NS11hip_rocprim14__parallel_for6kernelILj256ENS1_10for_each_fINS0_10device_ptrI11FixedVectorIiLj2EEEENS0_6detail16wrapped_functionINS9_23allocator_traits_detail5gozerEvEEEElLj1EEEvT0_T1_SG_.numbered_sgpr, 0
	.set _ZN6thrust23THRUST_200600_302600_NS11hip_rocprim14__parallel_for6kernelILj256ENS1_10for_each_fINS0_10device_ptrI11FixedVectorIiLj2EEEENS0_6detail16wrapped_functionINS9_23allocator_traits_detail5gozerEvEEEElLj1EEEvT0_T1_SG_.num_named_barrier, 0
	.set _ZN6thrust23THRUST_200600_302600_NS11hip_rocprim14__parallel_for6kernelILj256ENS1_10for_each_fINS0_10device_ptrI11FixedVectorIiLj2EEEENS0_6detail16wrapped_functionINS9_23allocator_traits_detail5gozerEvEEEElLj1EEEvT0_T1_SG_.private_seg_size, 0
	.set _ZN6thrust23THRUST_200600_302600_NS11hip_rocprim14__parallel_for6kernelILj256ENS1_10for_each_fINS0_10device_ptrI11FixedVectorIiLj2EEEENS0_6detail16wrapped_functionINS9_23allocator_traits_detail5gozerEvEEEElLj1EEEvT0_T1_SG_.uses_vcc, 0
	.set _ZN6thrust23THRUST_200600_302600_NS11hip_rocprim14__parallel_for6kernelILj256ENS1_10for_each_fINS0_10device_ptrI11FixedVectorIiLj2EEEENS0_6detail16wrapped_functionINS9_23allocator_traits_detail5gozerEvEEEElLj1EEEvT0_T1_SG_.uses_flat_scratch, 0
	.set _ZN6thrust23THRUST_200600_302600_NS11hip_rocprim14__parallel_for6kernelILj256ENS1_10for_each_fINS0_10device_ptrI11FixedVectorIiLj2EEEENS0_6detail16wrapped_functionINS9_23allocator_traits_detail5gozerEvEEEElLj1EEEvT0_T1_SG_.has_dyn_sized_stack, 0
	.set _ZN6thrust23THRUST_200600_302600_NS11hip_rocprim14__parallel_for6kernelILj256ENS1_10for_each_fINS0_10device_ptrI11FixedVectorIiLj2EEEENS0_6detail16wrapped_functionINS9_23allocator_traits_detail5gozerEvEEEElLj1EEEvT0_T1_SG_.has_recursion, 0
	.set _ZN6thrust23THRUST_200600_302600_NS11hip_rocprim14__parallel_for6kernelILj256ENS1_10for_each_fINS0_10device_ptrI11FixedVectorIiLj2EEEENS0_6detail16wrapped_functionINS9_23allocator_traits_detail5gozerEvEEEElLj1EEEvT0_T1_SG_.has_indirect_call, 0
	.section	.AMDGPU.csdata,"",@progbits
; Kernel info:
; codeLenInByte = 4
; TotalNumSgprs: 4
; NumVgprs: 0
; ScratchSize: 0
; MemoryBound: 0
; FloatMode: 240
; IeeeMode: 1
; LDSByteSize: 0 bytes/workgroup (compile time only)
; SGPRBlocks: 0
; VGPRBlocks: 0
; NumSGPRsForWavesPerEU: 4
; NumVGPRsForWavesPerEU: 1
; Occupancy: 10
; WaveLimiterHint : 0
; COMPUTE_PGM_RSRC2:SCRATCH_EN: 0
; COMPUTE_PGM_RSRC2:USER_SGPR: 6
; COMPUTE_PGM_RSRC2:TRAP_HANDLER: 0
; COMPUTE_PGM_RSRC2:TGID_X_EN: 1
; COMPUTE_PGM_RSRC2:TGID_Y_EN: 0
; COMPUTE_PGM_RSRC2:TGID_Z_EN: 0
; COMPUTE_PGM_RSRC2:TIDIG_COMP_CNT: 0
	.section	.text._ZN6thrust23THRUST_200600_302600_NS11hip_rocprim14__parallel_for6kernelILj256ENS1_10for_each_fINS0_6detail15normal_iteratorINS0_10device_ptrI11FixedVectorIiLj2EEEEEENS5_16wrapped_functionI24SetFixedVectorToConstantIiLj2EEvEEEElLj1EEEvT0_T1_SI_,"axG",@progbits,_ZN6thrust23THRUST_200600_302600_NS11hip_rocprim14__parallel_for6kernelILj256ENS1_10for_each_fINS0_6detail15normal_iteratorINS0_10device_ptrI11FixedVectorIiLj2EEEEEENS5_16wrapped_functionI24SetFixedVectorToConstantIiLj2EEvEEEElLj1EEEvT0_T1_SI_,comdat
	.protected	_ZN6thrust23THRUST_200600_302600_NS11hip_rocprim14__parallel_for6kernelILj256ENS1_10for_each_fINS0_6detail15normal_iteratorINS0_10device_ptrI11FixedVectorIiLj2EEEEEENS5_16wrapped_functionI24SetFixedVectorToConstantIiLj2EEvEEEElLj1EEEvT0_T1_SI_ ; -- Begin function _ZN6thrust23THRUST_200600_302600_NS11hip_rocprim14__parallel_for6kernelILj256ENS1_10for_each_fINS0_6detail15normal_iteratorINS0_10device_ptrI11FixedVectorIiLj2EEEEEENS5_16wrapped_functionI24SetFixedVectorToConstantIiLj2EEvEEEElLj1EEEvT0_T1_SI_
	.globl	_ZN6thrust23THRUST_200600_302600_NS11hip_rocprim14__parallel_for6kernelILj256ENS1_10for_each_fINS0_6detail15normal_iteratorINS0_10device_ptrI11FixedVectorIiLj2EEEEEENS5_16wrapped_functionI24SetFixedVectorToConstantIiLj2EEvEEEElLj1EEEvT0_T1_SI_
	.p2align	8
	.type	_ZN6thrust23THRUST_200600_302600_NS11hip_rocprim14__parallel_for6kernelILj256ENS1_10for_each_fINS0_6detail15normal_iteratorINS0_10device_ptrI11FixedVectorIiLj2EEEEEENS5_16wrapped_functionI24SetFixedVectorToConstantIiLj2EEvEEEElLj1EEEvT0_T1_SI_,@function
_ZN6thrust23THRUST_200600_302600_NS11hip_rocprim14__parallel_for6kernelILj256ENS1_10for_each_fINS0_6detail15normal_iteratorINS0_10device_ptrI11FixedVectorIiLj2EEEEEENS5_16wrapped_functionI24SetFixedVectorToConstantIiLj2EEvEEEElLj1EEEvT0_T1_SI_: ; @_ZN6thrust23THRUST_200600_302600_NS11hip_rocprim14__parallel_for6kernelILj256ENS1_10for_each_fINS0_6detail15normal_iteratorINS0_10device_ptrI11FixedVectorIiLj2EEEEEENS5_16wrapped_functionI24SetFixedVectorToConstantIiLj2EEvEEEElLj1EEEvT0_T1_SI_
; %bb.0:
	s_load_dwordx8 s[8:15], s[4:5], 0x0
	s_lshl_b32 s0, s6, 8
	v_mov_b32_e32 v1, 0x100
	v_mov_b32_e32 v2, 0
	s_waitcnt lgkmcnt(0)
	s_add_u32 s0, s14, s0
	s_addc_u32 s1, s15, 0
	s_sub_u32 s2, s12, s0
	s_subb_u32 s3, s13, s1
	v_cmp_lt_i64_e32 vcc, s[2:3], v[1:2]
	s_and_b64 s[4:5], vcc, exec
	s_cselect_b32 s4, s2, 0x100
	s_cmpk_eq_i32 s4, 0x100
	s_mov_b64 s[2:3], -1
	s_cbranch_scc0 .LBB38_3
; %bb.1:
	s_andn2_b64 vcc, exec, s[2:3]
	s_cbranch_vccz .LBB38_6
.LBB38_2:
	s_endpgm
.LBB38_3:
	v_cmp_gt_u32_e32 vcc, s4, v0
	s_and_saveexec_b64 s[2:3], vcc
	s_cbranch_execz .LBB38_5
; %bb.4:
	s_lshl_b64 s[4:5], s[0:1], 3
	s_add_u32 s4, s8, s4
	s_addc_u32 s5, s9, s5
	v_lshlrev_b32_e32 v1, 3, v0
	v_mov_b32_e32 v2, s5
	v_add_co_u32_e32 v1, vcc, s4, v1
	v_mov_b32_e32 v3, s10
	v_addc_co_u32_e32 v2, vcc, 0, v2, vcc
	v_mov_b32_e32 v4, s11
	flat_store_dwordx2 v[1:2], v[3:4]
.LBB38_5:
	s_or_b64 exec, exec, s[2:3]
	s_cbranch_execnz .LBB38_2
.LBB38_6:
	s_lshl_b64 s[0:1], s[0:1], 3
	s_add_u32 s0, s8, s0
	s_addc_u32 s1, s9, s1
	v_lshlrev_b32_e32 v0, 3, v0
	v_mov_b32_e32 v1, s1
	v_add_co_u32_e32 v0, vcc, s0, v0
	v_mov_b32_e32 v2, s10
	v_addc_co_u32_e32 v1, vcc, 0, v1, vcc
	v_mov_b32_e32 v3, s11
	flat_store_dwordx2 v[0:1], v[2:3]
	s_endpgm
	.section	.rodata,"a",@progbits
	.p2align	6, 0x0
	.amdhsa_kernel _ZN6thrust23THRUST_200600_302600_NS11hip_rocprim14__parallel_for6kernelILj256ENS1_10for_each_fINS0_6detail15normal_iteratorINS0_10device_ptrI11FixedVectorIiLj2EEEEEENS5_16wrapped_functionI24SetFixedVectorToConstantIiLj2EEvEEEElLj1EEEvT0_T1_SI_
		.amdhsa_group_segment_fixed_size 0
		.amdhsa_private_segment_fixed_size 0
		.amdhsa_kernarg_size 32
		.amdhsa_user_sgpr_count 6
		.amdhsa_user_sgpr_private_segment_buffer 1
		.amdhsa_user_sgpr_dispatch_ptr 0
		.amdhsa_user_sgpr_queue_ptr 0
		.amdhsa_user_sgpr_kernarg_segment_ptr 1
		.amdhsa_user_sgpr_dispatch_id 0
		.amdhsa_user_sgpr_flat_scratch_init 0
		.amdhsa_user_sgpr_private_segment_size 0
		.amdhsa_uses_dynamic_stack 0
		.amdhsa_system_sgpr_private_segment_wavefront_offset 0
		.amdhsa_system_sgpr_workgroup_id_x 1
		.amdhsa_system_sgpr_workgroup_id_y 0
		.amdhsa_system_sgpr_workgroup_id_z 0
		.amdhsa_system_sgpr_workgroup_info 0
		.amdhsa_system_vgpr_workitem_id 0
		.amdhsa_next_free_vgpr 5
		.amdhsa_next_free_sgpr 16
		.amdhsa_reserve_vcc 1
		.amdhsa_reserve_flat_scratch 0
		.amdhsa_float_round_mode_32 0
		.amdhsa_float_round_mode_16_64 0
		.amdhsa_float_denorm_mode_32 3
		.amdhsa_float_denorm_mode_16_64 3
		.amdhsa_dx10_clamp 1
		.amdhsa_ieee_mode 1
		.amdhsa_fp16_overflow 0
		.amdhsa_exception_fp_ieee_invalid_op 0
		.amdhsa_exception_fp_denorm_src 0
		.amdhsa_exception_fp_ieee_div_zero 0
		.amdhsa_exception_fp_ieee_overflow 0
		.amdhsa_exception_fp_ieee_underflow 0
		.amdhsa_exception_fp_ieee_inexact 0
		.amdhsa_exception_int_div_zero 0
	.end_amdhsa_kernel
	.section	.text._ZN6thrust23THRUST_200600_302600_NS11hip_rocprim14__parallel_for6kernelILj256ENS1_10for_each_fINS0_6detail15normal_iteratorINS0_10device_ptrI11FixedVectorIiLj2EEEEEENS5_16wrapped_functionI24SetFixedVectorToConstantIiLj2EEvEEEElLj1EEEvT0_T1_SI_,"axG",@progbits,_ZN6thrust23THRUST_200600_302600_NS11hip_rocprim14__parallel_for6kernelILj256ENS1_10for_each_fINS0_6detail15normal_iteratorINS0_10device_ptrI11FixedVectorIiLj2EEEEEENS5_16wrapped_functionI24SetFixedVectorToConstantIiLj2EEvEEEElLj1EEEvT0_T1_SI_,comdat
.Lfunc_end38:
	.size	_ZN6thrust23THRUST_200600_302600_NS11hip_rocprim14__parallel_for6kernelILj256ENS1_10for_each_fINS0_6detail15normal_iteratorINS0_10device_ptrI11FixedVectorIiLj2EEEEEENS5_16wrapped_functionI24SetFixedVectorToConstantIiLj2EEvEEEElLj1EEEvT0_T1_SI_, .Lfunc_end38-_ZN6thrust23THRUST_200600_302600_NS11hip_rocprim14__parallel_for6kernelILj256ENS1_10for_each_fINS0_6detail15normal_iteratorINS0_10device_ptrI11FixedVectorIiLj2EEEEEENS5_16wrapped_functionI24SetFixedVectorToConstantIiLj2EEvEEEElLj1EEEvT0_T1_SI_
                                        ; -- End function
	.set _ZN6thrust23THRUST_200600_302600_NS11hip_rocprim14__parallel_for6kernelILj256ENS1_10for_each_fINS0_6detail15normal_iteratorINS0_10device_ptrI11FixedVectorIiLj2EEEEEENS5_16wrapped_functionI24SetFixedVectorToConstantIiLj2EEvEEEElLj1EEEvT0_T1_SI_.num_vgpr, 5
	.set _ZN6thrust23THRUST_200600_302600_NS11hip_rocprim14__parallel_for6kernelILj256ENS1_10for_each_fINS0_6detail15normal_iteratorINS0_10device_ptrI11FixedVectorIiLj2EEEEEENS5_16wrapped_functionI24SetFixedVectorToConstantIiLj2EEvEEEElLj1EEEvT0_T1_SI_.num_agpr, 0
	.set _ZN6thrust23THRUST_200600_302600_NS11hip_rocprim14__parallel_for6kernelILj256ENS1_10for_each_fINS0_6detail15normal_iteratorINS0_10device_ptrI11FixedVectorIiLj2EEEEEENS5_16wrapped_functionI24SetFixedVectorToConstantIiLj2EEvEEEElLj1EEEvT0_T1_SI_.numbered_sgpr, 16
	.set _ZN6thrust23THRUST_200600_302600_NS11hip_rocprim14__parallel_for6kernelILj256ENS1_10for_each_fINS0_6detail15normal_iteratorINS0_10device_ptrI11FixedVectorIiLj2EEEEEENS5_16wrapped_functionI24SetFixedVectorToConstantIiLj2EEvEEEElLj1EEEvT0_T1_SI_.num_named_barrier, 0
	.set _ZN6thrust23THRUST_200600_302600_NS11hip_rocprim14__parallel_for6kernelILj256ENS1_10for_each_fINS0_6detail15normal_iteratorINS0_10device_ptrI11FixedVectorIiLj2EEEEEENS5_16wrapped_functionI24SetFixedVectorToConstantIiLj2EEvEEEElLj1EEEvT0_T1_SI_.private_seg_size, 0
	.set _ZN6thrust23THRUST_200600_302600_NS11hip_rocprim14__parallel_for6kernelILj256ENS1_10for_each_fINS0_6detail15normal_iteratorINS0_10device_ptrI11FixedVectorIiLj2EEEEEENS5_16wrapped_functionI24SetFixedVectorToConstantIiLj2EEvEEEElLj1EEEvT0_T1_SI_.uses_vcc, 1
	.set _ZN6thrust23THRUST_200600_302600_NS11hip_rocprim14__parallel_for6kernelILj256ENS1_10for_each_fINS0_6detail15normal_iteratorINS0_10device_ptrI11FixedVectorIiLj2EEEEEENS5_16wrapped_functionI24SetFixedVectorToConstantIiLj2EEvEEEElLj1EEEvT0_T1_SI_.uses_flat_scratch, 0
	.set _ZN6thrust23THRUST_200600_302600_NS11hip_rocprim14__parallel_for6kernelILj256ENS1_10for_each_fINS0_6detail15normal_iteratorINS0_10device_ptrI11FixedVectorIiLj2EEEEEENS5_16wrapped_functionI24SetFixedVectorToConstantIiLj2EEvEEEElLj1EEEvT0_T1_SI_.has_dyn_sized_stack, 0
	.set _ZN6thrust23THRUST_200600_302600_NS11hip_rocprim14__parallel_for6kernelILj256ENS1_10for_each_fINS0_6detail15normal_iteratorINS0_10device_ptrI11FixedVectorIiLj2EEEEEENS5_16wrapped_functionI24SetFixedVectorToConstantIiLj2EEvEEEElLj1EEEvT0_T1_SI_.has_recursion, 0
	.set _ZN6thrust23THRUST_200600_302600_NS11hip_rocprim14__parallel_for6kernelILj256ENS1_10for_each_fINS0_6detail15normal_iteratorINS0_10device_ptrI11FixedVectorIiLj2EEEEEENS5_16wrapped_functionI24SetFixedVectorToConstantIiLj2EEvEEEElLj1EEEvT0_T1_SI_.has_indirect_call, 0
	.section	.AMDGPU.csdata,"",@progbits
; Kernel info:
; codeLenInByte = 196
; TotalNumSgprs: 20
; NumVgprs: 5
; ScratchSize: 0
; MemoryBound: 0
; FloatMode: 240
; IeeeMode: 1
; LDSByteSize: 0 bytes/workgroup (compile time only)
; SGPRBlocks: 2
; VGPRBlocks: 1
; NumSGPRsForWavesPerEU: 20
; NumVGPRsForWavesPerEU: 5
; Occupancy: 10
; WaveLimiterHint : 0
; COMPUTE_PGM_RSRC2:SCRATCH_EN: 0
; COMPUTE_PGM_RSRC2:USER_SGPR: 6
; COMPUTE_PGM_RSRC2:TRAP_HANDLER: 0
; COMPUTE_PGM_RSRC2:TGID_X_EN: 1
; COMPUTE_PGM_RSRC2:TGID_Y_EN: 0
; COMPUTE_PGM_RSRC2:TGID_Z_EN: 0
; COMPUTE_PGM_RSRC2:TIDIG_COMP_CNT: 0
	.section	.text._ZN6thrust23THRUST_200600_302600_NS11hip_rocprim14__parallel_for6kernelILj256ENS1_10for_each_fINS0_10device_ptrI11FixedVectorIiLj4EEEENS0_6detail16wrapped_functionINS9_23allocator_traits_detail5gozerEvEEEElLj1EEEvT0_T1_SG_,"axG",@progbits,_ZN6thrust23THRUST_200600_302600_NS11hip_rocprim14__parallel_for6kernelILj256ENS1_10for_each_fINS0_10device_ptrI11FixedVectorIiLj4EEEENS0_6detail16wrapped_functionINS9_23allocator_traits_detail5gozerEvEEEElLj1EEEvT0_T1_SG_,comdat
	.protected	_ZN6thrust23THRUST_200600_302600_NS11hip_rocprim14__parallel_for6kernelILj256ENS1_10for_each_fINS0_10device_ptrI11FixedVectorIiLj4EEEENS0_6detail16wrapped_functionINS9_23allocator_traits_detail5gozerEvEEEElLj1EEEvT0_T1_SG_ ; -- Begin function _ZN6thrust23THRUST_200600_302600_NS11hip_rocprim14__parallel_for6kernelILj256ENS1_10for_each_fINS0_10device_ptrI11FixedVectorIiLj4EEEENS0_6detail16wrapped_functionINS9_23allocator_traits_detail5gozerEvEEEElLj1EEEvT0_T1_SG_
	.globl	_ZN6thrust23THRUST_200600_302600_NS11hip_rocprim14__parallel_for6kernelILj256ENS1_10for_each_fINS0_10device_ptrI11FixedVectorIiLj4EEEENS0_6detail16wrapped_functionINS9_23allocator_traits_detail5gozerEvEEEElLj1EEEvT0_T1_SG_
	.p2align	8
	.type	_ZN6thrust23THRUST_200600_302600_NS11hip_rocprim14__parallel_for6kernelILj256ENS1_10for_each_fINS0_10device_ptrI11FixedVectorIiLj4EEEENS0_6detail16wrapped_functionINS9_23allocator_traits_detail5gozerEvEEEElLj1EEEvT0_T1_SG_,@function
_ZN6thrust23THRUST_200600_302600_NS11hip_rocprim14__parallel_for6kernelILj256ENS1_10for_each_fINS0_10device_ptrI11FixedVectorIiLj4EEEENS0_6detail16wrapped_functionINS9_23allocator_traits_detail5gozerEvEEEElLj1EEEvT0_T1_SG_: ; @_ZN6thrust23THRUST_200600_302600_NS11hip_rocprim14__parallel_for6kernelILj256ENS1_10for_each_fINS0_10device_ptrI11FixedVectorIiLj4EEEENS0_6detail16wrapped_functionINS9_23allocator_traits_detail5gozerEvEEEElLj1EEEvT0_T1_SG_
; %bb.0:
	s_endpgm
	.section	.rodata,"a",@progbits
	.p2align	6, 0x0
	.amdhsa_kernel _ZN6thrust23THRUST_200600_302600_NS11hip_rocprim14__parallel_for6kernelILj256ENS1_10for_each_fINS0_10device_ptrI11FixedVectorIiLj4EEEENS0_6detail16wrapped_functionINS9_23allocator_traits_detail5gozerEvEEEElLj1EEEvT0_T1_SG_
		.amdhsa_group_segment_fixed_size 0
		.amdhsa_private_segment_fixed_size 0
		.amdhsa_kernarg_size 32
		.amdhsa_user_sgpr_count 6
		.amdhsa_user_sgpr_private_segment_buffer 1
		.amdhsa_user_sgpr_dispatch_ptr 0
		.amdhsa_user_sgpr_queue_ptr 0
		.amdhsa_user_sgpr_kernarg_segment_ptr 1
		.amdhsa_user_sgpr_dispatch_id 0
		.amdhsa_user_sgpr_flat_scratch_init 0
		.amdhsa_user_sgpr_private_segment_size 0
		.amdhsa_uses_dynamic_stack 0
		.amdhsa_system_sgpr_private_segment_wavefront_offset 0
		.amdhsa_system_sgpr_workgroup_id_x 1
		.amdhsa_system_sgpr_workgroup_id_y 0
		.amdhsa_system_sgpr_workgroup_id_z 0
		.amdhsa_system_sgpr_workgroup_info 0
		.amdhsa_system_vgpr_workitem_id 0
		.amdhsa_next_free_vgpr 1
		.amdhsa_next_free_sgpr 0
		.amdhsa_reserve_vcc 0
		.amdhsa_reserve_flat_scratch 0
		.amdhsa_float_round_mode_32 0
		.amdhsa_float_round_mode_16_64 0
		.amdhsa_float_denorm_mode_32 3
		.amdhsa_float_denorm_mode_16_64 3
		.amdhsa_dx10_clamp 1
		.amdhsa_ieee_mode 1
		.amdhsa_fp16_overflow 0
		.amdhsa_exception_fp_ieee_invalid_op 0
		.amdhsa_exception_fp_denorm_src 0
		.amdhsa_exception_fp_ieee_div_zero 0
		.amdhsa_exception_fp_ieee_overflow 0
		.amdhsa_exception_fp_ieee_underflow 0
		.amdhsa_exception_fp_ieee_inexact 0
		.amdhsa_exception_int_div_zero 0
	.end_amdhsa_kernel
	.section	.text._ZN6thrust23THRUST_200600_302600_NS11hip_rocprim14__parallel_for6kernelILj256ENS1_10for_each_fINS0_10device_ptrI11FixedVectorIiLj4EEEENS0_6detail16wrapped_functionINS9_23allocator_traits_detail5gozerEvEEEElLj1EEEvT0_T1_SG_,"axG",@progbits,_ZN6thrust23THRUST_200600_302600_NS11hip_rocprim14__parallel_for6kernelILj256ENS1_10for_each_fINS0_10device_ptrI11FixedVectorIiLj4EEEENS0_6detail16wrapped_functionINS9_23allocator_traits_detail5gozerEvEEEElLj1EEEvT0_T1_SG_,comdat
.Lfunc_end39:
	.size	_ZN6thrust23THRUST_200600_302600_NS11hip_rocprim14__parallel_for6kernelILj256ENS1_10for_each_fINS0_10device_ptrI11FixedVectorIiLj4EEEENS0_6detail16wrapped_functionINS9_23allocator_traits_detail5gozerEvEEEElLj1EEEvT0_T1_SG_, .Lfunc_end39-_ZN6thrust23THRUST_200600_302600_NS11hip_rocprim14__parallel_for6kernelILj256ENS1_10for_each_fINS0_10device_ptrI11FixedVectorIiLj4EEEENS0_6detail16wrapped_functionINS9_23allocator_traits_detail5gozerEvEEEElLj1EEEvT0_T1_SG_
                                        ; -- End function
	.set _ZN6thrust23THRUST_200600_302600_NS11hip_rocprim14__parallel_for6kernelILj256ENS1_10for_each_fINS0_10device_ptrI11FixedVectorIiLj4EEEENS0_6detail16wrapped_functionINS9_23allocator_traits_detail5gozerEvEEEElLj1EEEvT0_T1_SG_.num_vgpr, 0
	.set _ZN6thrust23THRUST_200600_302600_NS11hip_rocprim14__parallel_for6kernelILj256ENS1_10for_each_fINS0_10device_ptrI11FixedVectorIiLj4EEEENS0_6detail16wrapped_functionINS9_23allocator_traits_detail5gozerEvEEEElLj1EEEvT0_T1_SG_.num_agpr, 0
	.set _ZN6thrust23THRUST_200600_302600_NS11hip_rocprim14__parallel_for6kernelILj256ENS1_10for_each_fINS0_10device_ptrI11FixedVectorIiLj4EEEENS0_6detail16wrapped_functionINS9_23allocator_traits_detail5gozerEvEEEElLj1EEEvT0_T1_SG_.numbered_sgpr, 0
	.set _ZN6thrust23THRUST_200600_302600_NS11hip_rocprim14__parallel_for6kernelILj256ENS1_10for_each_fINS0_10device_ptrI11FixedVectorIiLj4EEEENS0_6detail16wrapped_functionINS9_23allocator_traits_detail5gozerEvEEEElLj1EEEvT0_T1_SG_.num_named_barrier, 0
	.set _ZN6thrust23THRUST_200600_302600_NS11hip_rocprim14__parallel_for6kernelILj256ENS1_10for_each_fINS0_10device_ptrI11FixedVectorIiLj4EEEENS0_6detail16wrapped_functionINS9_23allocator_traits_detail5gozerEvEEEElLj1EEEvT0_T1_SG_.private_seg_size, 0
	.set _ZN6thrust23THRUST_200600_302600_NS11hip_rocprim14__parallel_for6kernelILj256ENS1_10for_each_fINS0_10device_ptrI11FixedVectorIiLj4EEEENS0_6detail16wrapped_functionINS9_23allocator_traits_detail5gozerEvEEEElLj1EEEvT0_T1_SG_.uses_vcc, 0
	.set _ZN6thrust23THRUST_200600_302600_NS11hip_rocprim14__parallel_for6kernelILj256ENS1_10for_each_fINS0_10device_ptrI11FixedVectorIiLj4EEEENS0_6detail16wrapped_functionINS9_23allocator_traits_detail5gozerEvEEEElLj1EEEvT0_T1_SG_.uses_flat_scratch, 0
	.set _ZN6thrust23THRUST_200600_302600_NS11hip_rocprim14__parallel_for6kernelILj256ENS1_10for_each_fINS0_10device_ptrI11FixedVectorIiLj4EEEENS0_6detail16wrapped_functionINS9_23allocator_traits_detail5gozerEvEEEElLj1EEEvT0_T1_SG_.has_dyn_sized_stack, 0
	.set _ZN6thrust23THRUST_200600_302600_NS11hip_rocprim14__parallel_for6kernelILj256ENS1_10for_each_fINS0_10device_ptrI11FixedVectorIiLj4EEEENS0_6detail16wrapped_functionINS9_23allocator_traits_detail5gozerEvEEEElLj1EEEvT0_T1_SG_.has_recursion, 0
	.set _ZN6thrust23THRUST_200600_302600_NS11hip_rocprim14__parallel_for6kernelILj256ENS1_10for_each_fINS0_10device_ptrI11FixedVectorIiLj4EEEENS0_6detail16wrapped_functionINS9_23allocator_traits_detail5gozerEvEEEElLj1EEEvT0_T1_SG_.has_indirect_call, 0
	.section	.AMDGPU.csdata,"",@progbits
; Kernel info:
; codeLenInByte = 4
; TotalNumSgprs: 4
; NumVgprs: 0
; ScratchSize: 0
; MemoryBound: 0
; FloatMode: 240
; IeeeMode: 1
; LDSByteSize: 0 bytes/workgroup (compile time only)
; SGPRBlocks: 0
; VGPRBlocks: 0
; NumSGPRsForWavesPerEU: 4
; NumVGPRsForWavesPerEU: 1
; Occupancy: 10
; WaveLimiterHint : 0
; COMPUTE_PGM_RSRC2:SCRATCH_EN: 0
; COMPUTE_PGM_RSRC2:USER_SGPR: 6
; COMPUTE_PGM_RSRC2:TRAP_HANDLER: 0
; COMPUTE_PGM_RSRC2:TGID_X_EN: 1
; COMPUTE_PGM_RSRC2:TGID_Y_EN: 0
; COMPUTE_PGM_RSRC2:TGID_Z_EN: 0
; COMPUTE_PGM_RSRC2:TIDIG_COMP_CNT: 0
	.section	.text._ZN6thrust23THRUST_200600_302600_NS11hip_rocprim14__parallel_for6kernelILj256ENS1_10for_each_fINS0_6detail15normal_iteratorINS0_10device_ptrI11FixedVectorIiLj4EEEEEENS5_16wrapped_functionI24SetFixedVectorToConstantIiLj4EEvEEEElLj1EEEvT0_T1_SI_,"axG",@progbits,_ZN6thrust23THRUST_200600_302600_NS11hip_rocprim14__parallel_for6kernelILj256ENS1_10for_each_fINS0_6detail15normal_iteratorINS0_10device_ptrI11FixedVectorIiLj4EEEEEENS5_16wrapped_functionI24SetFixedVectorToConstantIiLj4EEvEEEElLj1EEEvT0_T1_SI_,comdat
	.protected	_ZN6thrust23THRUST_200600_302600_NS11hip_rocprim14__parallel_for6kernelILj256ENS1_10for_each_fINS0_6detail15normal_iteratorINS0_10device_ptrI11FixedVectorIiLj4EEEEEENS5_16wrapped_functionI24SetFixedVectorToConstantIiLj4EEvEEEElLj1EEEvT0_T1_SI_ ; -- Begin function _ZN6thrust23THRUST_200600_302600_NS11hip_rocprim14__parallel_for6kernelILj256ENS1_10for_each_fINS0_6detail15normal_iteratorINS0_10device_ptrI11FixedVectorIiLj4EEEEEENS5_16wrapped_functionI24SetFixedVectorToConstantIiLj4EEvEEEElLj1EEEvT0_T1_SI_
	.globl	_ZN6thrust23THRUST_200600_302600_NS11hip_rocprim14__parallel_for6kernelILj256ENS1_10for_each_fINS0_6detail15normal_iteratorINS0_10device_ptrI11FixedVectorIiLj4EEEEEENS5_16wrapped_functionI24SetFixedVectorToConstantIiLj4EEvEEEElLj1EEEvT0_T1_SI_
	.p2align	8
	.type	_ZN6thrust23THRUST_200600_302600_NS11hip_rocprim14__parallel_for6kernelILj256ENS1_10for_each_fINS0_6detail15normal_iteratorINS0_10device_ptrI11FixedVectorIiLj4EEEEEENS5_16wrapped_functionI24SetFixedVectorToConstantIiLj4EEvEEEElLj1EEEvT0_T1_SI_,@function
_ZN6thrust23THRUST_200600_302600_NS11hip_rocprim14__parallel_for6kernelILj256ENS1_10for_each_fINS0_6detail15normal_iteratorINS0_10device_ptrI11FixedVectorIiLj4EEEEEENS5_16wrapped_functionI24SetFixedVectorToConstantIiLj4EEvEEEElLj1EEEvT0_T1_SI_: ; @_ZN6thrust23THRUST_200600_302600_NS11hip_rocprim14__parallel_for6kernelILj256ENS1_10for_each_fINS0_6detail15normal_iteratorINS0_10device_ptrI11FixedVectorIiLj4EEEEEENS5_16wrapped_functionI24SetFixedVectorToConstantIiLj4EEvEEEElLj1EEEvT0_T1_SI_
; %bb.0:
	s_load_dwordx4 s[8:11], s[4:5], 0x18
	s_lshl_b32 s0, s6, 8
	s_load_dwordx2 s[6:7], s[4:5], 0x0
	v_mov_b32_e32 v1, 0x100
	v_mov_b32_e32 v2, 0
	s_waitcnt lgkmcnt(0)
	s_add_u32 s0, s10, s0
	s_addc_u32 s1, s11, 0
	s_sub_u32 s2, s8, s0
	s_subb_u32 s3, s9, s1
	v_cmp_lt_i64_e32 vcc, s[2:3], v[1:2]
	s_and_b64 s[8:9], vcc, exec
	s_cselect_b32 s2, s2, 0x100
	s_cmpk_eq_i32 s2, 0x100
	s_cbranch_scc1 .LBB40_4
; %bb.1:
	v_cmp_gt_u32_e32 vcc, s2, v0
	s_mov_b64 s[8:9], 0
	s_mov_b64 s[2:3], 0
                                        ; implicit-def: $vgpr1_vgpr2
	s_and_saveexec_b64 s[10:11], vcc
; %bb.2:
	s_lshl_b64 s[12:13], s[0:1], 4
	s_add_u32 s12, s6, s12
	s_addc_u32 s13, s7, s13
	v_lshlrev_b32_e32 v1, 4, v0
	v_mov_b32_e32 v2, s13
	v_add_co_u32_e32 v1, vcc, s12, v1
	s_mov_b64 s[2:3], exec
	v_addc_co_u32_e32 v2, vcc, 0, v2, vcc
; %bb.3:
	s_or_b64 exec, exec, s[10:11]
	s_and_b64 vcc, exec, s[8:9]
	s_cbranch_vccnz .LBB40_5
	s_branch .LBB40_6
.LBB40_4:
	s_mov_b64 s[2:3], 0
                                        ; implicit-def: $vgpr1_vgpr2
	s_cbranch_execz .LBB40_6
.LBB40_5:
	s_lshl_b64 s[0:1], s[0:1], 4
	s_add_u32 s0, s6, s0
	s_addc_u32 s1, s7, s1
	v_lshlrev_b32_e32 v0, 4, v0
	v_mov_b32_e32 v2, s1
	v_add_co_u32_e32 v1, vcc, s0, v0
	v_addc_co_u32_e32 v2, vcc, 0, v2, vcc
	s_or_b64 s[2:3], s[2:3], exec
.LBB40_6:
	s_and_saveexec_b64 s[0:1], s[2:3]
	s_cbranch_execnz .LBB40_8
; %bb.7:
	s_endpgm
.LBB40_8:
	s_load_dwordx4 s[0:3], s[4:5], 0x8
	s_waitcnt lgkmcnt(0)
	v_mov_b32_e32 v6, s3
	v_mov_b32_e32 v5, s2
	;; [unrolled: 1-line block ×4, first 2 shown]
	flat_store_dwordx4 v[1:2], v[3:6]
	s_endpgm
	.section	.rodata,"a",@progbits
	.p2align	6, 0x0
	.amdhsa_kernel _ZN6thrust23THRUST_200600_302600_NS11hip_rocprim14__parallel_for6kernelILj256ENS1_10for_each_fINS0_6detail15normal_iteratorINS0_10device_ptrI11FixedVectorIiLj4EEEEEENS5_16wrapped_functionI24SetFixedVectorToConstantIiLj4EEvEEEElLj1EEEvT0_T1_SI_
		.amdhsa_group_segment_fixed_size 0
		.amdhsa_private_segment_fixed_size 0
		.amdhsa_kernarg_size 40
		.amdhsa_user_sgpr_count 6
		.amdhsa_user_sgpr_private_segment_buffer 1
		.amdhsa_user_sgpr_dispatch_ptr 0
		.amdhsa_user_sgpr_queue_ptr 0
		.amdhsa_user_sgpr_kernarg_segment_ptr 1
		.amdhsa_user_sgpr_dispatch_id 0
		.amdhsa_user_sgpr_flat_scratch_init 0
		.amdhsa_user_sgpr_private_segment_size 0
		.amdhsa_uses_dynamic_stack 0
		.amdhsa_system_sgpr_private_segment_wavefront_offset 0
		.amdhsa_system_sgpr_workgroup_id_x 1
		.amdhsa_system_sgpr_workgroup_id_y 0
		.amdhsa_system_sgpr_workgroup_id_z 0
		.amdhsa_system_sgpr_workgroup_info 0
		.amdhsa_system_vgpr_workitem_id 0
		.amdhsa_next_free_vgpr 7
		.amdhsa_next_free_sgpr 14
		.amdhsa_reserve_vcc 1
		.amdhsa_reserve_flat_scratch 0
		.amdhsa_float_round_mode_32 0
		.amdhsa_float_round_mode_16_64 0
		.amdhsa_float_denorm_mode_32 3
		.amdhsa_float_denorm_mode_16_64 3
		.amdhsa_dx10_clamp 1
		.amdhsa_ieee_mode 1
		.amdhsa_fp16_overflow 0
		.amdhsa_exception_fp_ieee_invalid_op 0
		.amdhsa_exception_fp_denorm_src 0
		.amdhsa_exception_fp_ieee_div_zero 0
		.amdhsa_exception_fp_ieee_overflow 0
		.amdhsa_exception_fp_ieee_underflow 0
		.amdhsa_exception_fp_ieee_inexact 0
		.amdhsa_exception_int_div_zero 0
	.end_amdhsa_kernel
	.section	.text._ZN6thrust23THRUST_200600_302600_NS11hip_rocprim14__parallel_for6kernelILj256ENS1_10for_each_fINS0_6detail15normal_iteratorINS0_10device_ptrI11FixedVectorIiLj4EEEEEENS5_16wrapped_functionI24SetFixedVectorToConstantIiLj4EEvEEEElLj1EEEvT0_T1_SI_,"axG",@progbits,_ZN6thrust23THRUST_200600_302600_NS11hip_rocprim14__parallel_for6kernelILj256ENS1_10for_each_fINS0_6detail15normal_iteratorINS0_10device_ptrI11FixedVectorIiLj4EEEEEENS5_16wrapped_functionI24SetFixedVectorToConstantIiLj4EEvEEEElLj1EEEvT0_T1_SI_,comdat
.Lfunc_end40:
	.size	_ZN6thrust23THRUST_200600_302600_NS11hip_rocprim14__parallel_for6kernelILj256ENS1_10for_each_fINS0_6detail15normal_iteratorINS0_10device_ptrI11FixedVectorIiLj4EEEEEENS5_16wrapped_functionI24SetFixedVectorToConstantIiLj4EEvEEEElLj1EEEvT0_T1_SI_, .Lfunc_end40-_ZN6thrust23THRUST_200600_302600_NS11hip_rocprim14__parallel_for6kernelILj256ENS1_10for_each_fINS0_6detail15normal_iteratorINS0_10device_ptrI11FixedVectorIiLj4EEEEEENS5_16wrapped_functionI24SetFixedVectorToConstantIiLj4EEvEEEElLj1EEEvT0_T1_SI_
                                        ; -- End function
	.set _ZN6thrust23THRUST_200600_302600_NS11hip_rocprim14__parallel_for6kernelILj256ENS1_10for_each_fINS0_6detail15normal_iteratorINS0_10device_ptrI11FixedVectorIiLj4EEEEEENS5_16wrapped_functionI24SetFixedVectorToConstantIiLj4EEvEEEElLj1EEEvT0_T1_SI_.num_vgpr, 7
	.set _ZN6thrust23THRUST_200600_302600_NS11hip_rocprim14__parallel_for6kernelILj256ENS1_10for_each_fINS0_6detail15normal_iteratorINS0_10device_ptrI11FixedVectorIiLj4EEEEEENS5_16wrapped_functionI24SetFixedVectorToConstantIiLj4EEvEEEElLj1EEEvT0_T1_SI_.num_agpr, 0
	.set _ZN6thrust23THRUST_200600_302600_NS11hip_rocprim14__parallel_for6kernelILj256ENS1_10for_each_fINS0_6detail15normal_iteratorINS0_10device_ptrI11FixedVectorIiLj4EEEEEENS5_16wrapped_functionI24SetFixedVectorToConstantIiLj4EEvEEEElLj1EEEvT0_T1_SI_.numbered_sgpr, 14
	.set _ZN6thrust23THRUST_200600_302600_NS11hip_rocprim14__parallel_for6kernelILj256ENS1_10for_each_fINS0_6detail15normal_iteratorINS0_10device_ptrI11FixedVectorIiLj4EEEEEENS5_16wrapped_functionI24SetFixedVectorToConstantIiLj4EEvEEEElLj1EEEvT0_T1_SI_.num_named_barrier, 0
	.set _ZN6thrust23THRUST_200600_302600_NS11hip_rocprim14__parallel_for6kernelILj256ENS1_10for_each_fINS0_6detail15normal_iteratorINS0_10device_ptrI11FixedVectorIiLj4EEEEEENS5_16wrapped_functionI24SetFixedVectorToConstantIiLj4EEvEEEElLj1EEEvT0_T1_SI_.private_seg_size, 0
	.set _ZN6thrust23THRUST_200600_302600_NS11hip_rocprim14__parallel_for6kernelILj256ENS1_10for_each_fINS0_6detail15normal_iteratorINS0_10device_ptrI11FixedVectorIiLj4EEEEEENS5_16wrapped_functionI24SetFixedVectorToConstantIiLj4EEvEEEElLj1EEEvT0_T1_SI_.uses_vcc, 1
	.set _ZN6thrust23THRUST_200600_302600_NS11hip_rocprim14__parallel_for6kernelILj256ENS1_10for_each_fINS0_6detail15normal_iteratorINS0_10device_ptrI11FixedVectorIiLj4EEEEEENS5_16wrapped_functionI24SetFixedVectorToConstantIiLj4EEvEEEElLj1EEEvT0_T1_SI_.uses_flat_scratch, 0
	.set _ZN6thrust23THRUST_200600_302600_NS11hip_rocprim14__parallel_for6kernelILj256ENS1_10for_each_fINS0_6detail15normal_iteratorINS0_10device_ptrI11FixedVectorIiLj4EEEEEENS5_16wrapped_functionI24SetFixedVectorToConstantIiLj4EEvEEEElLj1EEEvT0_T1_SI_.has_dyn_sized_stack, 0
	.set _ZN6thrust23THRUST_200600_302600_NS11hip_rocprim14__parallel_for6kernelILj256ENS1_10for_each_fINS0_6detail15normal_iteratorINS0_10device_ptrI11FixedVectorIiLj4EEEEEENS5_16wrapped_functionI24SetFixedVectorToConstantIiLj4EEvEEEElLj1EEEvT0_T1_SI_.has_recursion, 0
	.set _ZN6thrust23THRUST_200600_302600_NS11hip_rocprim14__parallel_for6kernelILj256ENS1_10for_each_fINS0_6detail15normal_iteratorINS0_10device_ptrI11FixedVectorIiLj4EEEEEENS5_16wrapped_functionI24SetFixedVectorToConstantIiLj4EEvEEEElLj1EEEvT0_T1_SI_.has_indirect_call, 0
	.section	.AMDGPU.csdata,"",@progbits
; Kernel info:
; codeLenInByte = 232
; TotalNumSgprs: 18
; NumVgprs: 7
; ScratchSize: 0
; MemoryBound: 0
; FloatMode: 240
; IeeeMode: 1
; LDSByteSize: 0 bytes/workgroup (compile time only)
; SGPRBlocks: 2
; VGPRBlocks: 1
; NumSGPRsForWavesPerEU: 18
; NumVGPRsForWavesPerEU: 7
; Occupancy: 10
; WaveLimiterHint : 0
; COMPUTE_PGM_RSRC2:SCRATCH_EN: 0
; COMPUTE_PGM_RSRC2:USER_SGPR: 6
; COMPUTE_PGM_RSRC2:TRAP_HANDLER: 0
; COMPUTE_PGM_RSRC2:TGID_X_EN: 1
; COMPUTE_PGM_RSRC2:TGID_Y_EN: 0
; COMPUTE_PGM_RSRC2:TGID_Z_EN: 0
; COMPUTE_PGM_RSRC2:TIDIG_COMP_CNT: 0
	.section	.text._ZN6thrust23THRUST_200600_302600_NS11hip_rocprim14__parallel_for6kernelILj256ENS1_10for_each_fINS0_10device_ptrI11FixedVectorIiLj8EEEENS0_6detail16wrapped_functionINS9_23allocator_traits_detail5gozerEvEEEElLj1EEEvT0_T1_SG_,"axG",@progbits,_ZN6thrust23THRUST_200600_302600_NS11hip_rocprim14__parallel_for6kernelILj256ENS1_10for_each_fINS0_10device_ptrI11FixedVectorIiLj8EEEENS0_6detail16wrapped_functionINS9_23allocator_traits_detail5gozerEvEEEElLj1EEEvT0_T1_SG_,comdat
	.protected	_ZN6thrust23THRUST_200600_302600_NS11hip_rocprim14__parallel_for6kernelILj256ENS1_10for_each_fINS0_10device_ptrI11FixedVectorIiLj8EEEENS0_6detail16wrapped_functionINS9_23allocator_traits_detail5gozerEvEEEElLj1EEEvT0_T1_SG_ ; -- Begin function _ZN6thrust23THRUST_200600_302600_NS11hip_rocprim14__parallel_for6kernelILj256ENS1_10for_each_fINS0_10device_ptrI11FixedVectorIiLj8EEEENS0_6detail16wrapped_functionINS9_23allocator_traits_detail5gozerEvEEEElLj1EEEvT0_T1_SG_
	.globl	_ZN6thrust23THRUST_200600_302600_NS11hip_rocprim14__parallel_for6kernelILj256ENS1_10for_each_fINS0_10device_ptrI11FixedVectorIiLj8EEEENS0_6detail16wrapped_functionINS9_23allocator_traits_detail5gozerEvEEEElLj1EEEvT0_T1_SG_
	.p2align	8
	.type	_ZN6thrust23THRUST_200600_302600_NS11hip_rocprim14__parallel_for6kernelILj256ENS1_10for_each_fINS0_10device_ptrI11FixedVectorIiLj8EEEENS0_6detail16wrapped_functionINS9_23allocator_traits_detail5gozerEvEEEElLj1EEEvT0_T1_SG_,@function
_ZN6thrust23THRUST_200600_302600_NS11hip_rocprim14__parallel_for6kernelILj256ENS1_10for_each_fINS0_10device_ptrI11FixedVectorIiLj8EEEENS0_6detail16wrapped_functionINS9_23allocator_traits_detail5gozerEvEEEElLj1EEEvT0_T1_SG_: ; @_ZN6thrust23THRUST_200600_302600_NS11hip_rocprim14__parallel_for6kernelILj256ENS1_10for_each_fINS0_10device_ptrI11FixedVectorIiLj8EEEENS0_6detail16wrapped_functionINS9_23allocator_traits_detail5gozerEvEEEElLj1EEEvT0_T1_SG_
; %bb.0:
	s_endpgm
	.section	.rodata,"a",@progbits
	.p2align	6, 0x0
	.amdhsa_kernel _ZN6thrust23THRUST_200600_302600_NS11hip_rocprim14__parallel_for6kernelILj256ENS1_10for_each_fINS0_10device_ptrI11FixedVectorIiLj8EEEENS0_6detail16wrapped_functionINS9_23allocator_traits_detail5gozerEvEEEElLj1EEEvT0_T1_SG_
		.amdhsa_group_segment_fixed_size 0
		.amdhsa_private_segment_fixed_size 0
		.amdhsa_kernarg_size 32
		.amdhsa_user_sgpr_count 6
		.amdhsa_user_sgpr_private_segment_buffer 1
		.amdhsa_user_sgpr_dispatch_ptr 0
		.amdhsa_user_sgpr_queue_ptr 0
		.amdhsa_user_sgpr_kernarg_segment_ptr 1
		.amdhsa_user_sgpr_dispatch_id 0
		.amdhsa_user_sgpr_flat_scratch_init 0
		.amdhsa_user_sgpr_private_segment_size 0
		.amdhsa_uses_dynamic_stack 0
		.amdhsa_system_sgpr_private_segment_wavefront_offset 0
		.amdhsa_system_sgpr_workgroup_id_x 1
		.amdhsa_system_sgpr_workgroup_id_y 0
		.amdhsa_system_sgpr_workgroup_id_z 0
		.amdhsa_system_sgpr_workgroup_info 0
		.amdhsa_system_vgpr_workitem_id 0
		.amdhsa_next_free_vgpr 1
		.amdhsa_next_free_sgpr 0
		.amdhsa_reserve_vcc 0
		.amdhsa_reserve_flat_scratch 0
		.amdhsa_float_round_mode_32 0
		.amdhsa_float_round_mode_16_64 0
		.amdhsa_float_denorm_mode_32 3
		.amdhsa_float_denorm_mode_16_64 3
		.amdhsa_dx10_clamp 1
		.amdhsa_ieee_mode 1
		.amdhsa_fp16_overflow 0
		.amdhsa_exception_fp_ieee_invalid_op 0
		.amdhsa_exception_fp_denorm_src 0
		.amdhsa_exception_fp_ieee_div_zero 0
		.amdhsa_exception_fp_ieee_overflow 0
		.amdhsa_exception_fp_ieee_underflow 0
		.amdhsa_exception_fp_ieee_inexact 0
		.amdhsa_exception_int_div_zero 0
	.end_amdhsa_kernel
	.section	.text._ZN6thrust23THRUST_200600_302600_NS11hip_rocprim14__parallel_for6kernelILj256ENS1_10for_each_fINS0_10device_ptrI11FixedVectorIiLj8EEEENS0_6detail16wrapped_functionINS9_23allocator_traits_detail5gozerEvEEEElLj1EEEvT0_T1_SG_,"axG",@progbits,_ZN6thrust23THRUST_200600_302600_NS11hip_rocprim14__parallel_for6kernelILj256ENS1_10for_each_fINS0_10device_ptrI11FixedVectorIiLj8EEEENS0_6detail16wrapped_functionINS9_23allocator_traits_detail5gozerEvEEEElLj1EEEvT0_T1_SG_,comdat
.Lfunc_end41:
	.size	_ZN6thrust23THRUST_200600_302600_NS11hip_rocprim14__parallel_for6kernelILj256ENS1_10for_each_fINS0_10device_ptrI11FixedVectorIiLj8EEEENS0_6detail16wrapped_functionINS9_23allocator_traits_detail5gozerEvEEEElLj1EEEvT0_T1_SG_, .Lfunc_end41-_ZN6thrust23THRUST_200600_302600_NS11hip_rocprim14__parallel_for6kernelILj256ENS1_10for_each_fINS0_10device_ptrI11FixedVectorIiLj8EEEENS0_6detail16wrapped_functionINS9_23allocator_traits_detail5gozerEvEEEElLj1EEEvT0_T1_SG_
                                        ; -- End function
	.set _ZN6thrust23THRUST_200600_302600_NS11hip_rocprim14__parallel_for6kernelILj256ENS1_10for_each_fINS0_10device_ptrI11FixedVectorIiLj8EEEENS0_6detail16wrapped_functionINS9_23allocator_traits_detail5gozerEvEEEElLj1EEEvT0_T1_SG_.num_vgpr, 0
	.set _ZN6thrust23THRUST_200600_302600_NS11hip_rocprim14__parallel_for6kernelILj256ENS1_10for_each_fINS0_10device_ptrI11FixedVectorIiLj8EEEENS0_6detail16wrapped_functionINS9_23allocator_traits_detail5gozerEvEEEElLj1EEEvT0_T1_SG_.num_agpr, 0
	.set _ZN6thrust23THRUST_200600_302600_NS11hip_rocprim14__parallel_for6kernelILj256ENS1_10for_each_fINS0_10device_ptrI11FixedVectorIiLj8EEEENS0_6detail16wrapped_functionINS9_23allocator_traits_detail5gozerEvEEEElLj1EEEvT0_T1_SG_.numbered_sgpr, 0
	.set _ZN6thrust23THRUST_200600_302600_NS11hip_rocprim14__parallel_for6kernelILj256ENS1_10for_each_fINS0_10device_ptrI11FixedVectorIiLj8EEEENS0_6detail16wrapped_functionINS9_23allocator_traits_detail5gozerEvEEEElLj1EEEvT0_T1_SG_.num_named_barrier, 0
	.set _ZN6thrust23THRUST_200600_302600_NS11hip_rocprim14__parallel_for6kernelILj256ENS1_10for_each_fINS0_10device_ptrI11FixedVectorIiLj8EEEENS0_6detail16wrapped_functionINS9_23allocator_traits_detail5gozerEvEEEElLj1EEEvT0_T1_SG_.private_seg_size, 0
	.set _ZN6thrust23THRUST_200600_302600_NS11hip_rocprim14__parallel_for6kernelILj256ENS1_10for_each_fINS0_10device_ptrI11FixedVectorIiLj8EEEENS0_6detail16wrapped_functionINS9_23allocator_traits_detail5gozerEvEEEElLj1EEEvT0_T1_SG_.uses_vcc, 0
	.set _ZN6thrust23THRUST_200600_302600_NS11hip_rocprim14__parallel_for6kernelILj256ENS1_10for_each_fINS0_10device_ptrI11FixedVectorIiLj8EEEENS0_6detail16wrapped_functionINS9_23allocator_traits_detail5gozerEvEEEElLj1EEEvT0_T1_SG_.uses_flat_scratch, 0
	.set _ZN6thrust23THRUST_200600_302600_NS11hip_rocprim14__parallel_for6kernelILj256ENS1_10for_each_fINS0_10device_ptrI11FixedVectorIiLj8EEEENS0_6detail16wrapped_functionINS9_23allocator_traits_detail5gozerEvEEEElLj1EEEvT0_T1_SG_.has_dyn_sized_stack, 0
	.set _ZN6thrust23THRUST_200600_302600_NS11hip_rocprim14__parallel_for6kernelILj256ENS1_10for_each_fINS0_10device_ptrI11FixedVectorIiLj8EEEENS0_6detail16wrapped_functionINS9_23allocator_traits_detail5gozerEvEEEElLj1EEEvT0_T1_SG_.has_recursion, 0
	.set _ZN6thrust23THRUST_200600_302600_NS11hip_rocprim14__parallel_for6kernelILj256ENS1_10for_each_fINS0_10device_ptrI11FixedVectorIiLj8EEEENS0_6detail16wrapped_functionINS9_23allocator_traits_detail5gozerEvEEEElLj1EEEvT0_T1_SG_.has_indirect_call, 0
	.section	.AMDGPU.csdata,"",@progbits
; Kernel info:
; codeLenInByte = 4
; TotalNumSgprs: 4
; NumVgprs: 0
; ScratchSize: 0
; MemoryBound: 0
; FloatMode: 240
; IeeeMode: 1
; LDSByteSize: 0 bytes/workgroup (compile time only)
; SGPRBlocks: 0
; VGPRBlocks: 0
; NumSGPRsForWavesPerEU: 4
; NumVGPRsForWavesPerEU: 1
; Occupancy: 10
; WaveLimiterHint : 0
; COMPUTE_PGM_RSRC2:SCRATCH_EN: 0
; COMPUTE_PGM_RSRC2:USER_SGPR: 6
; COMPUTE_PGM_RSRC2:TRAP_HANDLER: 0
; COMPUTE_PGM_RSRC2:TGID_X_EN: 1
; COMPUTE_PGM_RSRC2:TGID_Y_EN: 0
; COMPUTE_PGM_RSRC2:TGID_Z_EN: 0
; COMPUTE_PGM_RSRC2:TIDIG_COMP_CNT: 0
	.section	.text._ZN6thrust23THRUST_200600_302600_NS11hip_rocprim14__parallel_for6kernelILj256ENS1_10for_each_fINS0_6detail15normal_iteratorINS0_10device_ptrI11FixedVectorIiLj8EEEEEENS5_16wrapped_functionI24SetFixedVectorToConstantIiLj8EEvEEEElLj1EEEvT0_T1_SI_,"axG",@progbits,_ZN6thrust23THRUST_200600_302600_NS11hip_rocprim14__parallel_for6kernelILj256ENS1_10for_each_fINS0_6detail15normal_iteratorINS0_10device_ptrI11FixedVectorIiLj8EEEEEENS5_16wrapped_functionI24SetFixedVectorToConstantIiLj8EEvEEEElLj1EEEvT0_T1_SI_,comdat
	.protected	_ZN6thrust23THRUST_200600_302600_NS11hip_rocprim14__parallel_for6kernelILj256ENS1_10for_each_fINS0_6detail15normal_iteratorINS0_10device_ptrI11FixedVectorIiLj8EEEEEENS5_16wrapped_functionI24SetFixedVectorToConstantIiLj8EEvEEEElLj1EEEvT0_T1_SI_ ; -- Begin function _ZN6thrust23THRUST_200600_302600_NS11hip_rocprim14__parallel_for6kernelILj256ENS1_10for_each_fINS0_6detail15normal_iteratorINS0_10device_ptrI11FixedVectorIiLj8EEEEEENS5_16wrapped_functionI24SetFixedVectorToConstantIiLj8EEvEEEElLj1EEEvT0_T1_SI_
	.globl	_ZN6thrust23THRUST_200600_302600_NS11hip_rocprim14__parallel_for6kernelILj256ENS1_10for_each_fINS0_6detail15normal_iteratorINS0_10device_ptrI11FixedVectorIiLj8EEEEEENS5_16wrapped_functionI24SetFixedVectorToConstantIiLj8EEvEEEElLj1EEEvT0_T1_SI_
	.p2align	8
	.type	_ZN6thrust23THRUST_200600_302600_NS11hip_rocprim14__parallel_for6kernelILj256ENS1_10for_each_fINS0_6detail15normal_iteratorINS0_10device_ptrI11FixedVectorIiLj8EEEEEENS5_16wrapped_functionI24SetFixedVectorToConstantIiLj8EEvEEEElLj1EEEvT0_T1_SI_,@function
_ZN6thrust23THRUST_200600_302600_NS11hip_rocprim14__parallel_for6kernelILj256ENS1_10for_each_fINS0_6detail15normal_iteratorINS0_10device_ptrI11FixedVectorIiLj8EEEEEENS5_16wrapped_functionI24SetFixedVectorToConstantIiLj8EEvEEEElLj1EEEvT0_T1_SI_: ; @_ZN6thrust23THRUST_200600_302600_NS11hip_rocprim14__parallel_for6kernelILj256ENS1_10for_each_fINS0_6detail15normal_iteratorINS0_10device_ptrI11FixedVectorIiLj8EEEEEENS5_16wrapped_functionI24SetFixedVectorToConstantIiLj8EEvEEEElLj1EEEvT0_T1_SI_
; %bb.0:
	s_load_dwordx4 s[8:11], s[4:5], 0x28
	s_lshl_b32 s0, s6, 8
	s_load_dwordx2 s[6:7], s[4:5], 0x0
	v_mov_b32_e32 v1, 0x100
	v_mov_b32_e32 v2, 0
	s_waitcnt lgkmcnt(0)
	s_add_u32 s0, s10, s0
	s_addc_u32 s1, s11, 0
	s_sub_u32 s2, s8, s0
	s_subb_u32 s3, s9, s1
	v_cmp_lt_i64_e32 vcc, s[2:3], v[1:2]
	s_and_b64 s[8:9], vcc, exec
	s_cselect_b32 s2, s2, 0x100
	s_cmpk_eq_i32 s2, 0x100
	s_cbranch_scc1 .LBB42_4
; %bb.1:
	v_cmp_gt_u32_e32 vcc, s2, v0
	s_mov_b64 s[8:9], 0
	s_mov_b64 s[2:3], 0
                                        ; implicit-def: $vgpr1_vgpr2
	s_and_saveexec_b64 s[10:11], vcc
; %bb.2:
	s_lshl_b64 s[12:13], s[0:1], 5
	s_add_u32 s12, s6, s12
	s_addc_u32 s13, s7, s13
	v_lshlrev_b32_e32 v1, 5, v0
	v_mov_b32_e32 v2, s13
	v_add_co_u32_e32 v1, vcc, s12, v1
	s_mov_b64 s[2:3], exec
	v_addc_co_u32_e32 v2, vcc, 0, v2, vcc
; %bb.3:
	s_or_b64 exec, exec, s[10:11]
	s_and_b64 vcc, exec, s[8:9]
	s_cbranch_vccnz .LBB42_5
	s_branch .LBB42_6
.LBB42_4:
	s_mov_b64 s[2:3], 0
                                        ; implicit-def: $vgpr1_vgpr2
	s_cbranch_execz .LBB42_6
.LBB42_5:
	s_lshl_b64 s[0:1], s[0:1], 5
	s_add_u32 s0, s6, s0
	s_addc_u32 s1, s7, s1
	v_lshlrev_b32_e32 v0, 5, v0
	v_mov_b32_e32 v2, s1
	v_add_co_u32_e32 v1, vcc, s0, v0
	v_addc_co_u32_e32 v2, vcc, 0, v2, vcc
	s_or_b64 s[2:3], s[2:3], exec
.LBB42_6:
	s_and_saveexec_b64 s[0:1], s[2:3]
	s_cbranch_execnz .LBB42_8
; %bb.7:
	s_endpgm
.LBB42_8:
	s_load_dwordx8 s[8:15], s[4:5], 0x8
	s_waitcnt lgkmcnt(0)
	v_mov_b32_e32 v3, s8
	v_mov_b32_e32 v4, s9
	;; [unrolled: 1-line block ×8, first 2 shown]
	flat_store_dwordx4 v[1:2], v[3:6]
	flat_store_dwordx4 v[1:2], v[7:10] offset:16
	s_endpgm
	.section	.rodata,"a",@progbits
	.p2align	6, 0x0
	.amdhsa_kernel _ZN6thrust23THRUST_200600_302600_NS11hip_rocprim14__parallel_for6kernelILj256ENS1_10for_each_fINS0_6detail15normal_iteratorINS0_10device_ptrI11FixedVectorIiLj8EEEEEENS5_16wrapped_functionI24SetFixedVectorToConstantIiLj8EEvEEEElLj1EEEvT0_T1_SI_
		.amdhsa_group_segment_fixed_size 0
		.amdhsa_private_segment_fixed_size 0
		.amdhsa_kernarg_size 56
		.amdhsa_user_sgpr_count 6
		.amdhsa_user_sgpr_private_segment_buffer 1
		.amdhsa_user_sgpr_dispatch_ptr 0
		.amdhsa_user_sgpr_queue_ptr 0
		.amdhsa_user_sgpr_kernarg_segment_ptr 1
		.amdhsa_user_sgpr_dispatch_id 0
		.amdhsa_user_sgpr_flat_scratch_init 0
		.amdhsa_user_sgpr_private_segment_size 0
		.amdhsa_uses_dynamic_stack 0
		.amdhsa_system_sgpr_private_segment_wavefront_offset 0
		.amdhsa_system_sgpr_workgroup_id_x 1
		.amdhsa_system_sgpr_workgroup_id_y 0
		.amdhsa_system_sgpr_workgroup_id_z 0
		.amdhsa_system_sgpr_workgroup_info 0
		.amdhsa_system_vgpr_workitem_id 0
		.amdhsa_next_free_vgpr 11
		.amdhsa_next_free_sgpr 16
		.amdhsa_reserve_vcc 1
		.amdhsa_reserve_flat_scratch 0
		.amdhsa_float_round_mode_32 0
		.amdhsa_float_round_mode_16_64 0
		.amdhsa_float_denorm_mode_32 3
		.amdhsa_float_denorm_mode_16_64 3
		.amdhsa_dx10_clamp 1
		.amdhsa_ieee_mode 1
		.amdhsa_fp16_overflow 0
		.amdhsa_exception_fp_ieee_invalid_op 0
		.amdhsa_exception_fp_denorm_src 0
		.amdhsa_exception_fp_ieee_div_zero 0
		.amdhsa_exception_fp_ieee_overflow 0
		.amdhsa_exception_fp_ieee_underflow 0
		.amdhsa_exception_fp_ieee_inexact 0
		.amdhsa_exception_int_div_zero 0
	.end_amdhsa_kernel
	.section	.text._ZN6thrust23THRUST_200600_302600_NS11hip_rocprim14__parallel_for6kernelILj256ENS1_10for_each_fINS0_6detail15normal_iteratorINS0_10device_ptrI11FixedVectorIiLj8EEEEEENS5_16wrapped_functionI24SetFixedVectorToConstantIiLj8EEvEEEElLj1EEEvT0_T1_SI_,"axG",@progbits,_ZN6thrust23THRUST_200600_302600_NS11hip_rocprim14__parallel_for6kernelILj256ENS1_10for_each_fINS0_6detail15normal_iteratorINS0_10device_ptrI11FixedVectorIiLj8EEEEEENS5_16wrapped_functionI24SetFixedVectorToConstantIiLj8EEvEEEElLj1EEEvT0_T1_SI_,comdat
.Lfunc_end42:
	.size	_ZN6thrust23THRUST_200600_302600_NS11hip_rocprim14__parallel_for6kernelILj256ENS1_10for_each_fINS0_6detail15normal_iteratorINS0_10device_ptrI11FixedVectorIiLj8EEEEEENS5_16wrapped_functionI24SetFixedVectorToConstantIiLj8EEvEEEElLj1EEEvT0_T1_SI_, .Lfunc_end42-_ZN6thrust23THRUST_200600_302600_NS11hip_rocprim14__parallel_for6kernelILj256ENS1_10for_each_fINS0_6detail15normal_iteratorINS0_10device_ptrI11FixedVectorIiLj8EEEEEENS5_16wrapped_functionI24SetFixedVectorToConstantIiLj8EEvEEEElLj1EEEvT0_T1_SI_
                                        ; -- End function
	.set _ZN6thrust23THRUST_200600_302600_NS11hip_rocprim14__parallel_for6kernelILj256ENS1_10for_each_fINS0_6detail15normal_iteratorINS0_10device_ptrI11FixedVectorIiLj8EEEEEENS5_16wrapped_functionI24SetFixedVectorToConstantIiLj8EEvEEEElLj1EEEvT0_T1_SI_.num_vgpr, 11
	.set _ZN6thrust23THRUST_200600_302600_NS11hip_rocprim14__parallel_for6kernelILj256ENS1_10for_each_fINS0_6detail15normal_iteratorINS0_10device_ptrI11FixedVectorIiLj8EEEEEENS5_16wrapped_functionI24SetFixedVectorToConstantIiLj8EEvEEEElLj1EEEvT0_T1_SI_.num_agpr, 0
	.set _ZN6thrust23THRUST_200600_302600_NS11hip_rocprim14__parallel_for6kernelILj256ENS1_10for_each_fINS0_6detail15normal_iteratorINS0_10device_ptrI11FixedVectorIiLj8EEEEEENS5_16wrapped_functionI24SetFixedVectorToConstantIiLj8EEvEEEElLj1EEEvT0_T1_SI_.numbered_sgpr, 16
	.set _ZN6thrust23THRUST_200600_302600_NS11hip_rocprim14__parallel_for6kernelILj256ENS1_10for_each_fINS0_6detail15normal_iteratorINS0_10device_ptrI11FixedVectorIiLj8EEEEEENS5_16wrapped_functionI24SetFixedVectorToConstantIiLj8EEvEEEElLj1EEEvT0_T1_SI_.num_named_barrier, 0
	.set _ZN6thrust23THRUST_200600_302600_NS11hip_rocprim14__parallel_for6kernelILj256ENS1_10for_each_fINS0_6detail15normal_iteratorINS0_10device_ptrI11FixedVectorIiLj8EEEEEENS5_16wrapped_functionI24SetFixedVectorToConstantIiLj8EEvEEEElLj1EEEvT0_T1_SI_.private_seg_size, 0
	.set _ZN6thrust23THRUST_200600_302600_NS11hip_rocprim14__parallel_for6kernelILj256ENS1_10for_each_fINS0_6detail15normal_iteratorINS0_10device_ptrI11FixedVectorIiLj8EEEEEENS5_16wrapped_functionI24SetFixedVectorToConstantIiLj8EEvEEEElLj1EEEvT0_T1_SI_.uses_vcc, 1
	.set _ZN6thrust23THRUST_200600_302600_NS11hip_rocprim14__parallel_for6kernelILj256ENS1_10for_each_fINS0_6detail15normal_iteratorINS0_10device_ptrI11FixedVectorIiLj8EEEEEENS5_16wrapped_functionI24SetFixedVectorToConstantIiLj8EEvEEEElLj1EEEvT0_T1_SI_.uses_flat_scratch, 0
	.set _ZN6thrust23THRUST_200600_302600_NS11hip_rocprim14__parallel_for6kernelILj256ENS1_10for_each_fINS0_6detail15normal_iteratorINS0_10device_ptrI11FixedVectorIiLj8EEEEEENS5_16wrapped_functionI24SetFixedVectorToConstantIiLj8EEvEEEElLj1EEEvT0_T1_SI_.has_dyn_sized_stack, 0
	.set _ZN6thrust23THRUST_200600_302600_NS11hip_rocprim14__parallel_for6kernelILj256ENS1_10for_each_fINS0_6detail15normal_iteratorINS0_10device_ptrI11FixedVectorIiLj8EEEEEENS5_16wrapped_functionI24SetFixedVectorToConstantIiLj8EEvEEEElLj1EEEvT0_T1_SI_.has_recursion, 0
	.set _ZN6thrust23THRUST_200600_302600_NS11hip_rocprim14__parallel_for6kernelILj256ENS1_10for_each_fINS0_6detail15normal_iteratorINS0_10device_ptrI11FixedVectorIiLj8EEEEEENS5_16wrapped_functionI24SetFixedVectorToConstantIiLj8EEvEEEElLj1EEEvT0_T1_SI_.has_indirect_call, 0
	.section	.AMDGPU.csdata,"",@progbits
; Kernel info:
; codeLenInByte = 256
; TotalNumSgprs: 20
; NumVgprs: 11
; ScratchSize: 0
; MemoryBound: 0
; FloatMode: 240
; IeeeMode: 1
; LDSByteSize: 0 bytes/workgroup (compile time only)
; SGPRBlocks: 2
; VGPRBlocks: 2
; NumSGPRsForWavesPerEU: 20
; NumVGPRsForWavesPerEU: 11
; Occupancy: 10
; WaveLimiterHint : 0
; COMPUTE_PGM_RSRC2:SCRATCH_EN: 0
; COMPUTE_PGM_RSRC2:USER_SGPR: 6
; COMPUTE_PGM_RSRC2:TRAP_HANDLER: 0
; COMPUTE_PGM_RSRC2:TGID_X_EN: 1
; COMPUTE_PGM_RSRC2:TGID_Y_EN: 0
; COMPUTE_PGM_RSRC2:TGID_Z_EN: 0
; COMPUTE_PGM_RSRC2:TIDIG_COMP_CNT: 0
	.section	.text._ZN6thrust23THRUST_200600_302600_NS11hip_rocprim14__parallel_for6kernelILj256ENS1_10for_each_fINS0_10device_ptrI11FixedVectorIiLj16EEEENS0_6detail16wrapped_functionINS9_23allocator_traits_detail5gozerEvEEEElLj1EEEvT0_T1_SG_,"axG",@progbits,_ZN6thrust23THRUST_200600_302600_NS11hip_rocprim14__parallel_for6kernelILj256ENS1_10for_each_fINS0_10device_ptrI11FixedVectorIiLj16EEEENS0_6detail16wrapped_functionINS9_23allocator_traits_detail5gozerEvEEEElLj1EEEvT0_T1_SG_,comdat
	.protected	_ZN6thrust23THRUST_200600_302600_NS11hip_rocprim14__parallel_for6kernelILj256ENS1_10for_each_fINS0_10device_ptrI11FixedVectorIiLj16EEEENS0_6detail16wrapped_functionINS9_23allocator_traits_detail5gozerEvEEEElLj1EEEvT0_T1_SG_ ; -- Begin function _ZN6thrust23THRUST_200600_302600_NS11hip_rocprim14__parallel_for6kernelILj256ENS1_10for_each_fINS0_10device_ptrI11FixedVectorIiLj16EEEENS0_6detail16wrapped_functionINS9_23allocator_traits_detail5gozerEvEEEElLj1EEEvT0_T1_SG_
	.globl	_ZN6thrust23THRUST_200600_302600_NS11hip_rocprim14__parallel_for6kernelILj256ENS1_10for_each_fINS0_10device_ptrI11FixedVectorIiLj16EEEENS0_6detail16wrapped_functionINS9_23allocator_traits_detail5gozerEvEEEElLj1EEEvT0_T1_SG_
	.p2align	8
	.type	_ZN6thrust23THRUST_200600_302600_NS11hip_rocprim14__parallel_for6kernelILj256ENS1_10for_each_fINS0_10device_ptrI11FixedVectorIiLj16EEEENS0_6detail16wrapped_functionINS9_23allocator_traits_detail5gozerEvEEEElLj1EEEvT0_T1_SG_,@function
_ZN6thrust23THRUST_200600_302600_NS11hip_rocprim14__parallel_for6kernelILj256ENS1_10for_each_fINS0_10device_ptrI11FixedVectorIiLj16EEEENS0_6detail16wrapped_functionINS9_23allocator_traits_detail5gozerEvEEEElLj1EEEvT0_T1_SG_: ; @_ZN6thrust23THRUST_200600_302600_NS11hip_rocprim14__parallel_for6kernelILj256ENS1_10for_each_fINS0_10device_ptrI11FixedVectorIiLj16EEEENS0_6detail16wrapped_functionINS9_23allocator_traits_detail5gozerEvEEEElLj1EEEvT0_T1_SG_
; %bb.0:
	s_endpgm
	.section	.rodata,"a",@progbits
	.p2align	6, 0x0
	.amdhsa_kernel _ZN6thrust23THRUST_200600_302600_NS11hip_rocprim14__parallel_for6kernelILj256ENS1_10for_each_fINS0_10device_ptrI11FixedVectorIiLj16EEEENS0_6detail16wrapped_functionINS9_23allocator_traits_detail5gozerEvEEEElLj1EEEvT0_T1_SG_
		.amdhsa_group_segment_fixed_size 0
		.amdhsa_private_segment_fixed_size 0
		.amdhsa_kernarg_size 32
		.amdhsa_user_sgpr_count 6
		.amdhsa_user_sgpr_private_segment_buffer 1
		.amdhsa_user_sgpr_dispatch_ptr 0
		.amdhsa_user_sgpr_queue_ptr 0
		.amdhsa_user_sgpr_kernarg_segment_ptr 1
		.amdhsa_user_sgpr_dispatch_id 0
		.amdhsa_user_sgpr_flat_scratch_init 0
		.amdhsa_user_sgpr_private_segment_size 0
		.amdhsa_uses_dynamic_stack 0
		.amdhsa_system_sgpr_private_segment_wavefront_offset 0
		.amdhsa_system_sgpr_workgroup_id_x 1
		.amdhsa_system_sgpr_workgroup_id_y 0
		.amdhsa_system_sgpr_workgroup_id_z 0
		.amdhsa_system_sgpr_workgroup_info 0
		.amdhsa_system_vgpr_workitem_id 0
		.amdhsa_next_free_vgpr 1
		.amdhsa_next_free_sgpr 0
		.amdhsa_reserve_vcc 0
		.amdhsa_reserve_flat_scratch 0
		.amdhsa_float_round_mode_32 0
		.amdhsa_float_round_mode_16_64 0
		.amdhsa_float_denorm_mode_32 3
		.amdhsa_float_denorm_mode_16_64 3
		.amdhsa_dx10_clamp 1
		.amdhsa_ieee_mode 1
		.amdhsa_fp16_overflow 0
		.amdhsa_exception_fp_ieee_invalid_op 0
		.amdhsa_exception_fp_denorm_src 0
		.amdhsa_exception_fp_ieee_div_zero 0
		.amdhsa_exception_fp_ieee_overflow 0
		.amdhsa_exception_fp_ieee_underflow 0
		.amdhsa_exception_fp_ieee_inexact 0
		.amdhsa_exception_int_div_zero 0
	.end_amdhsa_kernel
	.section	.text._ZN6thrust23THRUST_200600_302600_NS11hip_rocprim14__parallel_for6kernelILj256ENS1_10for_each_fINS0_10device_ptrI11FixedVectorIiLj16EEEENS0_6detail16wrapped_functionINS9_23allocator_traits_detail5gozerEvEEEElLj1EEEvT0_T1_SG_,"axG",@progbits,_ZN6thrust23THRUST_200600_302600_NS11hip_rocprim14__parallel_for6kernelILj256ENS1_10for_each_fINS0_10device_ptrI11FixedVectorIiLj16EEEENS0_6detail16wrapped_functionINS9_23allocator_traits_detail5gozerEvEEEElLj1EEEvT0_T1_SG_,comdat
.Lfunc_end43:
	.size	_ZN6thrust23THRUST_200600_302600_NS11hip_rocprim14__parallel_for6kernelILj256ENS1_10for_each_fINS0_10device_ptrI11FixedVectorIiLj16EEEENS0_6detail16wrapped_functionINS9_23allocator_traits_detail5gozerEvEEEElLj1EEEvT0_T1_SG_, .Lfunc_end43-_ZN6thrust23THRUST_200600_302600_NS11hip_rocprim14__parallel_for6kernelILj256ENS1_10for_each_fINS0_10device_ptrI11FixedVectorIiLj16EEEENS0_6detail16wrapped_functionINS9_23allocator_traits_detail5gozerEvEEEElLj1EEEvT0_T1_SG_
                                        ; -- End function
	.set _ZN6thrust23THRUST_200600_302600_NS11hip_rocprim14__parallel_for6kernelILj256ENS1_10for_each_fINS0_10device_ptrI11FixedVectorIiLj16EEEENS0_6detail16wrapped_functionINS9_23allocator_traits_detail5gozerEvEEEElLj1EEEvT0_T1_SG_.num_vgpr, 0
	.set _ZN6thrust23THRUST_200600_302600_NS11hip_rocprim14__parallel_for6kernelILj256ENS1_10for_each_fINS0_10device_ptrI11FixedVectorIiLj16EEEENS0_6detail16wrapped_functionINS9_23allocator_traits_detail5gozerEvEEEElLj1EEEvT0_T1_SG_.num_agpr, 0
	.set _ZN6thrust23THRUST_200600_302600_NS11hip_rocprim14__parallel_for6kernelILj256ENS1_10for_each_fINS0_10device_ptrI11FixedVectorIiLj16EEEENS0_6detail16wrapped_functionINS9_23allocator_traits_detail5gozerEvEEEElLj1EEEvT0_T1_SG_.numbered_sgpr, 0
	.set _ZN6thrust23THRUST_200600_302600_NS11hip_rocprim14__parallel_for6kernelILj256ENS1_10for_each_fINS0_10device_ptrI11FixedVectorIiLj16EEEENS0_6detail16wrapped_functionINS9_23allocator_traits_detail5gozerEvEEEElLj1EEEvT0_T1_SG_.num_named_barrier, 0
	.set _ZN6thrust23THRUST_200600_302600_NS11hip_rocprim14__parallel_for6kernelILj256ENS1_10for_each_fINS0_10device_ptrI11FixedVectorIiLj16EEEENS0_6detail16wrapped_functionINS9_23allocator_traits_detail5gozerEvEEEElLj1EEEvT0_T1_SG_.private_seg_size, 0
	.set _ZN6thrust23THRUST_200600_302600_NS11hip_rocprim14__parallel_for6kernelILj256ENS1_10for_each_fINS0_10device_ptrI11FixedVectorIiLj16EEEENS0_6detail16wrapped_functionINS9_23allocator_traits_detail5gozerEvEEEElLj1EEEvT0_T1_SG_.uses_vcc, 0
	.set _ZN6thrust23THRUST_200600_302600_NS11hip_rocprim14__parallel_for6kernelILj256ENS1_10for_each_fINS0_10device_ptrI11FixedVectorIiLj16EEEENS0_6detail16wrapped_functionINS9_23allocator_traits_detail5gozerEvEEEElLj1EEEvT0_T1_SG_.uses_flat_scratch, 0
	.set _ZN6thrust23THRUST_200600_302600_NS11hip_rocprim14__parallel_for6kernelILj256ENS1_10for_each_fINS0_10device_ptrI11FixedVectorIiLj16EEEENS0_6detail16wrapped_functionINS9_23allocator_traits_detail5gozerEvEEEElLj1EEEvT0_T1_SG_.has_dyn_sized_stack, 0
	.set _ZN6thrust23THRUST_200600_302600_NS11hip_rocprim14__parallel_for6kernelILj256ENS1_10for_each_fINS0_10device_ptrI11FixedVectorIiLj16EEEENS0_6detail16wrapped_functionINS9_23allocator_traits_detail5gozerEvEEEElLj1EEEvT0_T1_SG_.has_recursion, 0
	.set _ZN6thrust23THRUST_200600_302600_NS11hip_rocprim14__parallel_for6kernelILj256ENS1_10for_each_fINS0_10device_ptrI11FixedVectorIiLj16EEEENS0_6detail16wrapped_functionINS9_23allocator_traits_detail5gozerEvEEEElLj1EEEvT0_T1_SG_.has_indirect_call, 0
	.section	.AMDGPU.csdata,"",@progbits
; Kernel info:
; codeLenInByte = 4
; TotalNumSgprs: 4
; NumVgprs: 0
; ScratchSize: 0
; MemoryBound: 0
; FloatMode: 240
; IeeeMode: 1
; LDSByteSize: 0 bytes/workgroup (compile time only)
; SGPRBlocks: 0
; VGPRBlocks: 0
; NumSGPRsForWavesPerEU: 4
; NumVGPRsForWavesPerEU: 1
; Occupancy: 10
; WaveLimiterHint : 0
; COMPUTE_PGM_RSRC2:SCRATCH_EN: 0
; COMPUTE_PGM_RSRC2:USER_SGPR: 6
; COMPUTE_PGM_RSRC2:TRAP_HANDLER: 0
; COMPUTE_PGM_RSRC2:TGID_X_EN: 1
; COMPUTE_PGM_RSRC2:TGID_Y_EN: 0
; COMPUTE_PGM_RSRC2:TGID_Z_EN: 0
; COMPUTE_PGM_RSRC2:TIDIG_COMP_CNT: 0
	.section	.text._ZN6thrust23THRUST_200600_302600_NS11hip_rocprim14__parallel_for6kernelILj256ENS1_10for_each_fINS0_6detail15normal_iteratorINS0_10device_ptrI11FixedVectorIiLj16EEEEEENS5_16wrapped_functionI24SetFixedVectorToConstantIiLj16EEvEEEElLj1EEEvT0_T1_SI_,"axG",@progbits,_ZN6thrust23THRUST_200600_302600_NS11hip_rocprim14__parallel_for6kernelILj256ENS1_10for_each_fINS0_6detail15normal_iteratorINS0_10device_ptrI11FixedVectorIiLj16EEEEEENS5_16wrapped_functionI24SetFixedVectorToConstantIiLj16EEvEEEElLj1EEEvT0_T1_SI_,comdat
	.protected	_ZN6thrust23THRUST_200600_302600_NS11hip_rocprim14__parallel_for6kernelILj256ENS1_10for_each_fINS0_6detail15normal_iteratorINS0_10device_ptrI11FixedVectorIiLj16EEEEEENS5_16wrapped_functionI24SetFixedVectorToConstantIiLj16EEvEEEElLj1EEEvT0_T1_SI_ ; -- Begin function _ZN6thrust23THRUST_200600_302600_NS11hip_rocprim14__parallel_for6kernelILj256ENS1_10for_each_fINS0_6detail15normal_iteratorINS0_10device_ptrI11FixedVectorIiLj16EEEEEENS5_16wrapped_functionI24SetFixedVectorToConstantIiLj16EEvEEEElLj1EEEvT0_T1_SI_
	.globl	_ZN6thrust23THRUST_200600_302600_NS11hip_rocprim14__parallel_for6kernelILj256ENS1_10for_each_fINS0_6detail15normal_iteratorINS0_10device_ptrI11FixedVectorIiLj16EEEEEENS5_16wrapped_functionI24SetFixedVectorToConstantIiLj16EEvEEEElLj1EEEvT0_T1_SI_
	.p2align	8
	.type	_ZN6thrust23THRUST_200600_302600_NS11hip_rocprim14__parallel_for6kernelILj256ENS1_10for_each_fINS0_6detail15normal_iteratorINS0_10device_ptrI11FixedVectorIiLj16EEEEEENS5_16wrapped_functionI24SetFixedVectorToConstantIiLj16EEvEEEElLj1EEEvT0_T1_SI_,@function
_ZN6thrust23THRUST_200600_302600_NS11hip_rocprim14__parallel_for6kernelILj256ENS1_10for_each_fINS0_6detail15normal_iteratorINS0_10device_ptrI11FixedVectorIiLj16EEEEEENS5_16wrapped_functionI24SetFixedVectorToConstantIiLj16EEvEEEElLj1EEEvT0_T1_SI_: ; @_ZN6thrust23THRUST_200600_302600_NS11hip_rocprim14__parallel_for6kernelILj256ENS1_10for_each_fINS0_6detail15normal_iteratorINS0_10device_ptrI11FixedVectorIiLj16EEEEEENS5_16wrapped_functionI24SetFixedVectorToConstantIiLj16EEvEEEElLj1EEEvT0_T1_SI_
; %bb.0:
	s_load_dwordx4 s[8:11], s[4:5], 0x48
	s_load_dwordx2 s[0:1], s[4:5], 0x0
	s_lshl_b32 s2, s6, 8
	v_mov_b32_e32 v1, 0x100
	v_mov_b32_e32 v2, 0
	s_waitcnt lgkmcnt(0)
	s_add_u32 s6, s10, s2
	s_addc_u32 s7, s11, 0
	s_sub_u32 s2, s8, s6
	s_subb_u32 s3, s9, s7
	v_cmp_lt_i64_e32 vcc, s[2:3], v[1:2]
	s_and_b64 s[8:9], vcc, exec
	s_cselect_b32 s2, s2, 0x100
	s_cmpk_eq_i32 s2, 0x100
	s_cbranch_scc1 .LBB44_4
; %bb.1:
	v_cmp_gt_u32_e32 vcc, s2, v0
	s_mov_b64 s[8:9], 0
	s_mov_b64 s[2:3], 0
                                        ; implicit-def: $vgpr1_vgpr2
	s_and_saveexec_b64 s[10:11], vcc
; %bb.2:
	s_lshl_b64 s[12:13], s[6:7], 6
	s_add_u32 s12, s0, s12
	s_addc_u32 s13, s1, s13
	v_lshlrev_b32_e32 v1, 6, v0
	v_mov_b32_e32 v2, s13
	v_add_co_u32_e32 v1, vcc, s12, v1
	s_mov_b64 s[2:3], exec
	v_addc_co_u32_e32 v2, vcc, 0, v2, vcc
; %bb.3:
	s_or_b64 exec, exec, s[10:11]
	s_and_b64 vcc, exec, s[8:9]
	s_cbranch_vccnz .LBB44_5
	s_branch .LBB44_6
.LBB44_4:
	s_mov_b64 s[2:3], 0
                                        ; implicit-def: $vgpr1_vgpr2
	s_cbranch_execz .LBB44_6
.LBB44_5:
	s_lshl_b64 s[6:7], s[6:7], 6
	s_add_u32 s0, s0, s6
	s_addc_u32 s1, s1, s7
	v_lshlrev_b32_e32 v0, 6, v0
	v_mov_b32_e32 v2, s1
	v_add_co_u32_e32 v1, vcc, s0, v0
	v_addc_co_u32_e32 v2, vcc, 0, v2, vcc
	s_or_b64 s[2:3], s[2:3], exec
.LBB44_6:
	s_and_saveexec_b64 s[0:1], s[2:3]
	s_cbranch_execnz .LBB44_8
; %bb.7:
	s_endpgm
.LBB44_8:
	s_load_dwordx8 s[8:15], s[4:5], 0x8
	s_load_dwordx8 s[16:23], s[4:5], 0x28
	s_waitcnt lgkmcnt(0)
	v_mov_b32_e32 v3, s8
	v_mov_b32_e32 v4, s9
	;; [unrolled: 1-line block ×12, first 2 shown]
	flat_store_dwordx4 v[1:2], v[3:6]
	flat_store_dwordx4 v[1:2], v[7:10] offset:16
	flat_store_dwordx4 v[1:2], v[11:14] offset:32
	v_mov_b32_e32 v3, s20
	v_mov_b32_e32 v4, s21
	;; [unrolled: 1-line block ×4, first 2 shown]
	flat_store_dwordx4 v[1:2], v[3:6] offset:48
	s_endpgm
	.section	.rodata,"a",@progbits
	.p2align	6, 0x0
	.amdhsa_kernel _ZN6thrust23THRUST_200600_302600_NS11hip_rocprim14__parallel_for6kernelILj256ENS1_10for_each_fINS0_6detail15normal_iteratorINS0_10device_ptrI11FixedVectorIiLj16EEEEEENS5_16wrapped_functionI24SetFixedVectorToConstantIiLj16EEvEEEElLj1EEEvT0_T1_SI_
		.amdhsa_group_segment_fixed_size 0
		.amdhsa_private_segment_fixed_size 0
		.amdhsa_kernarg_size 88
		.amdhsa_user_sgpr_count 6
		.amdhsa_user_sgpr_private_segment_buffer 1
		.amdhsa_user_sgpr_dispatch_ptr 0
		.amdhsa_user_sgpr_queue_ptr 0
		.amdhsa_user_sgpr_kernarg_segment_ptr 1
		.amdhsa_user_sgpr_dispatch_id 0
		.amdhsa_user_sgpr_flat_scratch_init 0
		.amdhsa_user_sgpr_private_segment_size 0
		.amdhsa_uses_dynamic_stack 0
		.amdhsa_system_sgpr_private_segment_wavefront_offset 0
		.amdhsa_system_sgpr_workgroup_id_x 1
		.amdhsa_system_sgpr_workgroup_id_y 0
		.amdhsa_system_sgpr_workgroup_id_z 0
		.amdhsa_system_sgpr_workgroup_info 0
		.amdhsa_system_vgpr_workitem_id 0
		.amdhsa_next_free_vgpr 15
		.amdhsa_next_free_sgpr 24
		.amdhsa_reserve_vcc 1
		.amdhsa_reserve_flat_scratch 0
		.amdhsa_float_round_mode_32 0
		.amdhsa_float_round_mode_16_64 0
		.amdhsa_float_denorm_mode_32 3
		.amdhsa_float_denorm_mode_16_64 3
		.amdhsa_dx10_clamp 1
		.amdhsa_ieee_mode 1
		.amdhsa_fp16_overflow 0
		.amdhsa_exception_fp_ieee_invalid_op 0
		.amdhsa_exception_fp_denorm_src 0
		.amdhsa_exception_fp_ieee_div_zero 0
		.amdhsa_exception_fp_ieee_overflow 0
		.amdhsa_exception_fp_ieee_underflow 0
		.amdhsa_exception_fp_ieee_inexact 0
		.amdhsa_exception_int_div_zero 0
	.end_amdhsa_kernel
	.section	.text._ZN6thrust23THRUST_200600_302600_NS11hip_rocprim14__parallel_for6kernelILj256ENS1_10for_each_fINS0_6detail15normal_iteratorINS0_10device_ptrI11FixedVectorIiLj16EEEEEENS5_16wrapped_functionI24SetFixedVectorToConstantIiLj16EEvEEEElLj1EEEvT0_T1_SI_,"axG",@progbits,_ZN6thrust23THRUST_200600_302600_NS11hip_rocprim14__parallel_for6kernelILj256ENS1_10for_each_fINS0_6detail15normal_iteratorINS0_10device_ptrI11FixedVectorIiLj16EEEEEENS5_16wrapped_functionI24SetFixedVectorToConstantIiLj16EEvEEEElLj1EEEvT0_T1_SI_,comdat
.Lfunc_end44:
	.size	_ZN6thrust23THRUST_200600_302600_NS11hip_rocprim14__parallel_for6kernelILj256ENS1_10for_each_fINS0_6detail15normal_iteratorINS0_10device_ptrI11FixedVectorIiLj16EEEEEENS5_16wrapped_functionI24SetFixedVectorToConstantIiLj16EEvEEEElLj1EEEvT0_T1_SI_, .Lfunc_end44-_ZN6thrust23THRUST_200600_302600_NS11hip_rocprim14__parallel_for6kernelILj256ENS1_10for_each_fINS0_6detail15normal_iteratorINS0_10device_ptrI11FixedVectorIiLj16EEEEEENS5_16wrapped_functionI24SetFixedVectorToConstantIiLj16EEvEEEElLj1EEEvT0_T1_SI_
                                        ; -- End function
	.set _ZN6thrust23THRUST_200600_302600_NS11hip_rocprim14__parallel_for6kernelILj256ENS1_10for_each_fINS0_6detail15normal_iteratorINS0_10device_ptrI11FixedVectorIiLj16EEEEEENS5_16wrapped_functionI24SetFixedVectorToConstantIiLj16EEvEEEElLj1EEEvT0_T1_SI_.num_vgpr, 15
	.set _ZN6thrust23THRUST_200600_302600_NS11hip_rocprim14__parallel_for6kernelILj256ENS1_10for_each_fINS0_6detail15normal_iteratorINS0_10device_ptrI11FixedVectorIiLj16EEEEEENS5_16wrapped_functionI24SetFixedVectorToConstantIiLj16EEvEEEElLj1EEEvT0_T1_SI_.num_agpr, 0
	.set _ZN6thrust23THRUST_200600_302600_NS11hip_rocprim14__parallel_for6kernelILj256ENS1_10for_each_fINS0_6detail15normal_iteratorINS0_10device_ptrI11FixedVectorIiLj16EEEEEENS5_16wrapped_functionI24SetFixedVectorToConstantIiLj16EEvEEEElLj1EEEvT0_T1_SI_.numbered_sgpr, 24
	.set _ZN6thrust23THRUST_200600_302600_NS11hip_rocprim14__parallel_for6kernelILj256ENS1_10for_each_fINS0_6detail15normal_iteratorINS0_10device_ptrI11FixedVectorIiLj16EEEEEENS5_16wrapped_functionI24SetFixedVectorToConstantIiLj16EEvEEEElLj1EEEvT0_T1_SI_.num_named_barrier, 0
	.set _ZN6thrust23THRUST_200600_302600_NS11hip_rocprim14__parallel_for6kernelILj256ENS1_10for_each_fINS0_6detail15normal_iteratorINS0_10device_ptrI11FixedVectorIiLj16EEEEEENS5_16wrapped_functionI24SetFixedVectorToConstantIiLj16EEvEEEElLj1EEEvT0_T1_SI_.private_seg_size, 0
	.set _ZN6thrust23THRUST_200600_302600_NS11hip_rocprim14__parallel_for6kernelILj256ENS1_10for_each_fINS0_6detail15normal_iteratorINS0_10device_ptrI11FixedVectorIiLj16EEEEEENS5_16wrapped_functionI24SetFixedVectorToConstantIiLj16EEvEEEElLj1EEEvT0_T1_SI_.uses_vcc, 1
	.set _ZN6thrust23THRUST_200600_302600_NS11hip_rocprim14__parallel_for6kernelILj256ENS1_10for_each_fINS0_6detail15normal_iteratorINS0_10device_ptrI11FixedVectorIiLj16EEEEEENS5_16wrapped_functionI24SetFixedVectorToConstantIiLj16EEvEEEElLj1EEEvT0_T1_SI_.uses_flat_scratch, 0
	.set _ZN6thrust23THRUST_200600_302600_NS11hip_rocprim14__parallel_for6kernelILj256ENS1_10for_each_fINS0_6detail15normal_iteratorINS0_10device_ptrI11FixedVectorIiLj16EEEEEENS5_16wrapped_functionI24SetFixedVectorToConstantIiLj16EEvEEEElLj1EEEvT0_T1_SI_.has_dyn_sized_stack, 0
	.set _ZN6thrust23THRUST_200600_302600_NS11hip_rocprim14__parallel_for6kernelILj256ENS1_10for_each_fINS0_6detail15normal_iteratorINS0_10device_ptrI11FixedVectorIiLj16EEEEEENS5_16wrapped_functionI24SetFixedVectorToConstantIiLj16EEvEEEElLj1EEEvT0_T1_SI_.has_recursion, 0
	.set _ZN6thrust23THRUST_200600_302600_NS11hip_rocprim14__parallel_for6kernelILj256ENS1_10for_each_fINS0_6detail15normal_iteratorINS0_10device_ptrI11FixedVectorIiLj16EEEEEENS5_16wrapped_functionI24SetFixedVectorToConstantIiLj16EEvEEEElLj1EEEvT0_T1_SI_.has_indirect_call, 0
	.section	.AMDGPU.csdata,"",@progbits
; Kernel info:
; codeLenInByte = 312
; TotalNumSgprs: 28
; NumVgprs: 15
; ScratchSize: 0
; MemoryBound: 0
; FloatMode: 240
; IeeeMode: 1
; LDSByteSize: 0 bytes/workgroup (compile time only)
; SGPRBlocks: 3
; VGPRBlocks: 3
; NumSGPRsForWavesPerEU: 28
; NumVGPRsForWavesPerEU: 15
; Occupancy: 10
; WaveLimiterHint : 1
; COMPUTE_PGM_RSRC2:SCRATCH_EN: 0
; COMPUTE_PGM_RSRC2:USER_SGPR: 6
; COMPUTE_PGM_RSRC2:TRAP_HANDLER: 0
; COMPUTE_PGM_RSRC2:TGID_X_EN: 1
; COMPUTE_PGM_RSRC2:TGID_Y_EN: 0
; COMPUTE_PGM_RSRC2:TGID_Z_EN: 0
; COMPUTE_PGM_RSRC2:TIDIG_COMP_CNT: 0
	.section	.text._ZN6thrust23THRUST_200600_302600_NS11hip_rocprim14__parallel_for6kernelILj256ENS1_10for_each_fINS0_10device_ptrI11FixedVectorIiLj32EEEENS0_6detail16wrapped_functionINS9_23allocator_traits_detail5gozerEvEEEElLj1EEEvT0_T1_SG_,"axG",@progbits,_ZN6thrust23THRUST_200600_302600_NS11hip_rocprim14__parallel_for6kernelILj256ENS1_10for_each_fINS0_10device_ptrI11FixedVectorIiLj32EEEENS0_6detail16wrapped_functionINS9_23allocator_traits_detail5gozerEvEEEElLj1EEEvT0_T1_SG_,comdat
	.protected	_ZN6thrust23THRUST_200600_302600_NS11hip_rocprim14__parallel_for6kernelILj256ENS1_10for_each_fINS0_10device_ptrI11FixedVectorIiLj32EEEENS0_6detail16wrapped_functionINS9_23allocator_traits_detail5gozerEvEEEElLj1EEEvT0_T1_SG_ ; -- Begin function _ZN6thrust23THRUST_200600_302600_NS11hip_rocprim14__parallel_for6kernelILj256ENS1_10for_each_fINS0_10device_ptrI11FixedVectorIiLj32EEEENS0_6detail16wrapped_functionINS9_23allocator_traits_detail5gozerEvEEEElLj1EEEvT0_T1_SG_
	.globl	_ZN6thrust23THRUST_200600_302600_NS11hip_rocprim14__parallel_for6kernelILj256ENS1_10for_each_fINS0_10device_ptrI11FixedVectorIiLj32EEEENS0_6detail16wrapped_functionINS9_23allocator_traits_detail5gozerEvEEEElLj1EEEvT0_T1_SG_
	.p2align	8
	.type	_ZN6thrust23THRUST_200600_302600_NS11hip_rocprim14__parallel_for6kernelILj256ENS1_10for_each_fINS0_10device_ptrI11FixedVectorIiLj32EEEENS0_6detail16wrapped_functionINS9_23allocator_traits_detail5gozerEvEEEElLj1EEEvT0_T1_SG_,@function
_ZN6thrust23THRUST_200600_302600_NS11hip_rocprim14__parallel_for6kernelILj256ENS1_10for_each_fINS0_10device_ptrI11FixedVectorIiLj32EEEENS0_6detail16wrapped_functionINS9_23allocator_traits_detail5gozerEvEEEElLj1EEEvT0_T1_SG_: ; @_ZN6thrust23THRUST_200600_302600_NS11hip_rocprim14__parallel_for6kernelILj256ENS1_10for_each_fINS0_10device_ptrI11FixedVectorIiLj32EEEENS0_6detail16wrapped_functionINS9_23allocator_traits_detail5gozerEvEEEElLj1EEEvT0_T1_SG_
; %bb.0:
	s_endpgm
	.section	.rodata,"a",@progbits
	.p2align	6, 0x0
	.amdhsa_kernel _ZN6thrust23THRUST_200600_302600_NS11hip_rocprim14__parallel_for6kernelILj256ENS1_10for_each_fINS0_10device_ptrI11FixedVectorIiLj32EEEENS0_6detail16wrapped_functionINS9_23allocator_traits_detail5gozerEvEEEElLj1EEEvT0_T1_SG_
		.amdhsa_group_segment_fixed_size 0
		.amdhsa_private_segment_fixed_size 0
		.amdhsa_kernarg_size 32
		.amdhsa_user_sgpr_count 6
		.amdhsa_user_sgpr_private_segment_buffer 1
		.amdhsa_user_sgpr_dispatch_ptr 0
		.amdhsa_user_sgpr_queue_ptr 0
		.amdhsa_user_sgpr_kernarg_segment_ptr 1
		.amdhsa_user_sgpr_dispatch_id 0
		.amdhsa_user_sgpr_flat_scratch_init 0
		.amdhsa_user_sgpr_private_segment_size 0
		.amdhsa_uses_dynamic_stack 0
		.amdhsa_system_sgpr_private_segment_wavefront_offset 0
		.amdhsa_system_sgpr_workgroup_id_x 1
		.amdhsa_system_sgpr_workgroup_id_y 0
		.amdhsa_system_sgpr_workgroup_id_z 0
		.amdhsa_system_sgpr_workgroup_info 0
		.amdhsa_system_vgpr_workitem_id 0
		.amdhsa_next_free_vgpr 1
		.amdhsa_next_free_sgpr 0
		.amdhsa_reserve_vcc 0
		.amdhsa_reserve_flat_scratch 0
		.amdhsa_float_round_mode_32 0
		.amdhsa_float_round_mode_16_64 0
		.amdhsa_float_denorm_mode_32 3
		.amdhsa_float_denorm_mode_16_64 3
		.amdhsa_dx10_clamp 1
		.amdhsa_ieee_mode 1
		.amdhsa_fp16_overflow 0
		.amdhsa_exception_fp_ieee_invalid_op 0
		.amdhsa_exception_fp_denorm_src 0
		.amdhsa_exception_fp_ieee_div_zero 0
		.amdhsa_exception_fp_ieee_overflow 0
		.amdhsa_exception_fp_ieee_underflow 0
		.amdhsa_exception_fp_ieee_inexact 0
		.amdhsa_exception_int_div_zero 0
	.end_amdhsa_kernel
	.section	.text._ZN6thrust23THRUST_200600_302600_NS11hip_rocprim14__parallel_for6kernelILj256ENS1_10for_each_fINS0_10device_ptrI11FixedVectorIiLj32EEEENS0_6detail16wrapped_functionINS9_23allocator_traits_detail5gozerEvEEEElLj1EEEvT0_T1_SG_,"axG",@progbits,_ZN6thrust23THRUST_200600_302600_NS11hip_rocprim14__parallel_for6kernelILj256ENS1_10for_each_fINS0_10device_ptrI11FixedVectorIiLj32EEEENS0_6detail16wrapped_functionINS9_23allocator_traits_detail5gozerEvEEEElLj1EEEvT0_T1_SG_,comdat
.Lfunc_end45:
	.size	_ZN6thrust23THRUST_200600_302600_NS11hip_rocprim14__parallel_for6kernelILj256ENS1_10for_each_fINS0_10device_ptrI11FixedVectorIiLj32EEEENS0_6detail16wrapped_functionINS9_23allocator_traits_detail5gozerEvEEEElLj1EEEvT0_T1_SG_, .Lfunc_end45-_ZN6thrust23THRUST_200600_302600_NS11hip_rocprim14__parallel_for6kernelILj256ENS1_10for_each_fINS0_10device_ptrI11FixedVectorIiLj32EEEENS0_6detail16wrapped_functionINS9_23allocator_traits_detail5gozerEvEEEElLj1EEEvT0_T1_SG_
                                        ; -- End function
	.set _ZN6thrust23THRUST_200600_302600_NS11hip_rocprim14__parallel_for6kernelILj256ENS1_10for_each_fINS0_10device_ptrI11FixedVectorIiLj32EEEENS0_6detail16wrapped_functionINS9_23allocator_traits_detail5gozerEvEEEElLj1EEEvT0_T1_SG_.num_vgpr, 0
	.set _ZN6thrust23THRUST_200600_302600_NS11hip_rocprim14__parallel_for6kernelILj256ENS1_10for_each_fINS0_10device_ptrI11FixedVectorIiLj32EEEENS0_6detail16wrapped_functionINS9_23allocator_traits_detail5gozerEvEEEElLj1EEEvT0_T1_SG_.num_agpr, 0
	.set _ZN6thrust23THRUST_200600_302600_NS11hip_rocprim14__parallel_for6kernelILj256ENS1_10for_each_fINS0_10device_ptrI11FixedVectorIiLj32EEEENS0_6detail16wrapped_functionINS9_23allocator_traits_detail5gozerEvEEEElLj1EEEvT0_T1_SG_.numbered_sgpr, 0
	.set _ZN6thrust23THRUST_200600_302600_NS11hip_rocprim14__parallel_for6kernelILj256ENS1_10for_each_fINS0_10device_ptrI11FixedVectorIiLj32EEEENS0_6detail16wrapped_functionINS9_23allocator_traits_detail5gozerEvEEEElLj1EEEvT0_T1_SG_.num_named_barrier, 0
	.set _ZN6thrust23THRUST_200600_302600_NS11hip_rocprim14__parallel_for6kernelILj256ENS1_10for_each_fINS0_10device_ptrI11FixedVectorIiLj32EEEENS0_6detail16wrapped_functionINS9_23allocator_traits_detail5gozerEvEEEElLj1EEEvT0_T1_SG_.private_seg_size, 0
	.set _ZN6thrust23THRUST_200600_302600_NS11hip_rocprim14__parallel_for6kernelILj256ENS1_10for_each_fINS0_10device_ptrI11FixedVectorIiLj32EEEENS0_6detail16wrapped_functionINS9_23allocator_traits_detail5gozerEvEEEElLj1EEEvT0_T1_SG_.uses_vcc, 0
	.set _ZN6thrust23THRUST_200600_302600_NS11hip_rocprim14__parallel_for6kernelILj256ENS1_10for_each_fINS0_10device_ptrI11FixedVectorIiLj32EEEENS0_6detail16wrapped_functionINS9_23allocator_traits_detail5gozerEvEEEElLj1EEEvT0_T1_SG_.uses_flat_scratch, 0
	.set _ZN6thrust23THRUST_200600_302600_NS11hip_rocprim14__parallel_for6kernelILj256ENS1_10for_each_fINS0_10device_ptrI11FixedVectorIiLj32EEEENS0_6detail16wrapped_functionINS9_23allocator_traits_detail5gozerEvEEEElLj1EEEvT0_T1_SG_.has_dyn_sized_stack, 0
	.set _ZN6thrust23THRUST_200600_302600_NS11hip_rocprim14__parallel_for6kernelILj256ENS1_10for_each_fINS0_10device_ptrI11FixedVectorIiLj32EEEENS0_6detail16wrapped_functionINS9_23allocator_traits_detail5gozerEvEEEElLj1EEEvT0_T1_SG_.has_recursion, 0
	.set _ZN6thrust23THRUST_200600_302600_NS11hip_rocprim14__parallel_for6kernelILj256ENS1_10for_each_fINS0_10device_ptrI11FixedVectorIiLj32EEEENS0_6detail16wrapped_functionINS9_23allocator_traits_detail5gozerEvEEEElLj1EEEvT0_T1_SG_.has_indirect_call, 0
	.section	.AMDGPU.csdata,"",@progbits
; Kernel info:
; codeLenInByte = 4
; TotalNumSgprs: 4
; NumVgprs: 0
; ScratchSize: 0
; MemoryBound: 0
; FloatMode: 240
; IeeeMode: 1
; LDSByteSize: 0 bytes/workgroup (compile time only)
; SGPRBlocks: 0
; VGPRBlocks: 0
; NumSGPRsForWavesPerEU: 4
; NumVGPRsForWavesPerEU: 1
; Occupancy: 10
; WaveLimiterHint : 0
; COMPUTE_PGM_RSRC2:SCRATCH_EN: 0
; COMPUTE_PGM_RSRC2:USER_SGPR: 6
; COMPUTE_PGM_RSRC2:TRAP_HANDLER: 0
; COMPUTE_PGM_RSRC2:TGID_X_EN: 1
; COMPUTE_PGM_RSRC2:TGID_Y_EN: 0
; COMPUTE_PGM_RSRC2:TGID_Z_EN: 0
; COMPUTE_PGM_RSRC2:TIDIG_COMP_CNT: 0
	.section	.text._ZN6thrust23THRUST_200600_302600_NS11hip_rocprim14__parallel_for6kernelILj256ENS1_10for_each_fINS0_6detail15normal_iteratorINS0_10device_ptrI11FixedVectorIiLj32EEEEEENS5_16wrapped_functionI24SetFixedVectorToConstantIiLj32EEvEEEElLj1EEEvT0_T1_SI_,"axG",@progbits,_ZN6thrust23THRUST_200600_302600_NS11hip_rocprim14__parallel_for6kernelILj256ENS1_10for_each_fINS0_6detail15normal_iteratorINS0_10device_ptrI11FixedVectorIiLj32EEEEEENS5_16wrapped_functionI24SetFixedVectorToConstantIiLj32EEvEEEElLj1EEEvT0_T1_SI_,comdat
	.protected	_ZN6thrust23THRUST_200600_302600_NS11hip_rocprim14__parallel_for6kernelILj256ENS1_10for_each_fINS0_6detail15normal_iteratorINS0_10device_ptrI11FixedVectorIiLj32EEEEEENS5_16wrapped_functionI24SetFixedVectorToConstantIiLj32EEvEEEElLj1EEEvT0_T1_SI_ ; -- Begin function _ZN6thrust23THRUST_200600_302600_NS11hip_rocprim14__parallel_for6kernelILj256ENS1_10for_each_fINS0_6detail15normal_iteratorINS0_10device_ptrI11FixedVectorIiLj32EEEEEENS5_16wrapped_functionI24SetFixedVectorToConstantIiLj32EEvEEEElLj1EEEvT0_T1_SI_
	.globl	_ZN6thrust23THRUST_200600_302600_NS11hip_rocprim14__parallel_for6kernelILj256ENS1_10for_each_fINS0_6detail15normal_iteratorINS0_10device_ptrI11FixedVectorIiLj32EEEEEENS5_16wrapped_functionI24SetFixedVectorToConstantIiLj32EEvEEEElLj1EEEvT0_T1_SI_
	.p2align	8
	.type	_ZN6thrust23THRUST_200600_302600_NS11hip_rocprim14__parallel_for6kernelILj256ENS1_10for_each_fINS0_6detail15normal_iteratorINS0_10device_ptrI11FixedVectorIiLj32EEEEEENS5_16wrapped_functionI24SetFixedVectorToConstantIiLj32EEvEEEElLj1EEEvT0_T1_SI_,@function
_ZN6thrust23THRUST_200600_302600_NS11hip_rocprim14__parallel_for6kernelILj256ENS1_10for_each_fINS0_6detail15normal_iteratorINS0_10device_ptrI11FixedVectorIiLj32EEEEEENS5_16wrapped_functionI24SetFixedVectorToConstantIiLj32EEvEEEElLj1EEEvT0_T1_SI_: ; @_ZN6thrust23THRUST_200600_302600_NS11hip_rocprim14__parallel_for6kernelILj256ENS1_10for_each_fINS0_6detail15normal_iteratorINS0_10device_ptrI11FixedVectorIiLj32EEEEEENS5_16wrapped_functionI24SetFixedVectorToConstantIiLj32EEvEEEElLj1EEEvT0_T1_SI_
; %bb.0:
	s_load_dwordx4 s[8:11], s[4:5], 0x88
	s_load_dwordx2 s[0:1], s[4:5], 0x0
	s_lshl_b32 s2, s6, 8
	v_mov_b32_e32 v1, 0x100
	v_mov_b32_e32 v2, 0
	s_waitcnt lgkmcnt(0)
	s_add_u32 s6, s10, s2
	s_addc_u32 s7, s11, 0
	s_sub_u32 s2, s8, s6
	s_subb_u32 s3, s9, s7
	v_cmp_lt_i64_e32 vcc, s[2:3], v[1:2]
	s_and_b64 s[8:9], vcc, exec
	s_cselect_b32 s2, s2, 0x100
	s_cmpk_eq_i32 s2, 0x100
	s_cbranch_scc1 .LBB46_4
; %bb.1:
	v_cmp_gt_u32_e32 vcc, s2, v0
	s_mov_b64 s[8:9], 0
	s_mov_b64 s[2:3], 0
                                        ; implicit-def: $vgpr1_vgpr2
	s_and_saveexec_b64 s[10:11], vcc
; %bb.2:
	s_lshl_b64 s[12:13], s[6:7], 7
	s_add_u32 s12, s0, s12
	s_addc_u32 s13, s1, s13
	v_lshlrev_b32_e32 v1, 7, v0
	v_mov_b32_e32 v2, s13
	v_add_co_u32_e32 v1, vcc, s12, v1
	s_mov_b64 s[2:3], exec
	v_addc_co_u32_e32 v2, vcc, 0, v2, vcc
; %bb.3:
	s_or_b64 exec, exec, s[10:11]
	s_and_b64 vcc, exec, s[8:9]
	s_cbranch_vccnz .LBB46_5
	s_branch .LBB46_6
.LBB46_4:
	s_mov_b64 s[2:3], 0
                                        ; implicit-def: $vgpr1_vgpr2
	s_cbranch_execz .LBB46_6
.LBB46_5:
	s_lshl_b64 s[6:7], s[6:7], 7
	s_add_u32 s0, s0, s6
	s_addc_u32 s1, s1, s7
	v_lshlrev_b32_e32 v0, 7, v0
	v_mov_b32_e32 v2, s1
	v_add_co_u32_e32 v1, vcc, s0, v0
	v_addc_co_u32_e32 v2, vcc, 0, v2, vcc
	s_or_b64 s[2:3], s[2:3], exec
.LBB46_6:
	s_and_saveexec_b64 s[0:1], s[2:3]
	s_cbranch_execnz .LBB46_8
; %bb.7:
	s_endpgm
.LBB46_8:
	s_load_dwordx8 s[8:15], s[4:5], 0x8
	s_load_dwordx8 s[16:23], s[4:5], 0x28
	s_load_dwordx4 s[0:3], s[4:5], 0x48
	s_waitcnt lgkmcnt(0)
	v_mov_b32_e32 v3, s8
	v_mov_b32_e32 v4, s9
	;; [unrolled: 1-line block ×8, first 2 shown]
	flat_store_dwordx4 v[1:2], v[3:6]
	flat_store_dwordx4 v[1:2], v[7:10] offset:16
	v_mov_b32_e32 v3, s20
	v_mov_b32_e32 v4, s21
	;; [unrolled: 1-line block ×4, first 2 shown]
	s_load_dwordx4 s[8:11], s[4:5], 0x58
	flat_store_dwordx4 v[1:2], v[3:6] offset:48
	s_load_dwordx4 s[12:15], s[4:5], 0x78
	v_mov_b32_e32 v6, s3
	v_mov_b32_e32 v5, s2
	;; [unrolled: 1-line block ×4, first 2 shown]
	s_load_dwordx4 s[0:3], s[4:5], 0x68
	flat_store_dwordx4 v[1:2], v[3:6] offset:64
	v_mov_b32_e32 v11, s16
	s_waitcnt lgkmcnt(0)
	v_mov_b32_e32 v3, s8
	v_mov_b32_e32 v4, s9
	;; [unrolled: 1-line block ×4, first 2 shown]
	flat_store_dwordx4 v[1:2], v[3:6] offset:80
	v_mov_b32_e32 v12, s17
	v_mov_b32_e32 v6, s3
	;; [unrolled: 1-line block ×5, first 2 shown]
	flat_store_dwordx4 v[1:2], v[3:6] offset:96
	v_mov_b32_e32 v13, s18
	v_mov_b32_e32 v3, s12
	v_mov_b32_e32 v14, s19
	v_mov_b32_e32 v4, s13
	v_mov_b32_e32 v5, s14
	v_mov_b32_e32 v6, s15
	flat_store_dwordx4 v[1:2], v[11:14] offset:32
	flat_store_dwordx4 v[1:2], v[3:6] offset:112
	s_endpgm
	.section	.rodata,"a",@progbits
	.p2align	6, 0x0
	.amdhsa_kernel _ZN6thrust23THRUST_200600_302600_NS11hip_rocprim14__parallel_for6kernelILj256ENS1_10for_each_fINS0_6detail15normal_iteratorINS0_10device_ptrI11FixedVectorIiLj32EEEEEENS5_16wrapped_functionI24SetFixedVectorToConstantIiLj32EEvEEEElLj1EEEvT0_T1_SI_
		.amdhsa_group_segment_fixed_size 0
		.amdhsa_private_segment_fixed_size 0
		.amdhsa_kernarg_size 152
		.amdhsa_user_sgpr_count 6
		.amdhsa_user_sgpr_private_segment_buffer 1
		.amdhsa_user_sgpr_dispatch_ptr 0
		.amdhsa_user_sgpr_queue_ptr 0
		.amdhsa_user_sgpr_kernarg_segment_ptr 1
		.amdhsa_user_sgpr_dispatch_id 0
		.amdhsa_user_sgpr_flat_scratch_init 0
		.amdhsa_user_sgpr_private_segment_size 0
		.amdhsa_uses_dynamic_stack 0
		.amdhsa_system_sgpr_private_segment_wavefront_offset 0
		.amdhsa_system_sgpr_workgroup_id_x 1
		.amdhsa_system_sgpr_workgroup_id_y 0
		.amdhsa_system_sgpr_workgroup_id_z 0
		.amdhsa_system_sgpr_workgroup_info 0
		.amdhsa_system_vgpr_workitem_id 0
		.amdhsa_next_free_vgpr 15
		.amdhsa_next_free_sgpr 24
		.amdhsa_reserve_vcc 1
		.amdhsa_reserve_flat_scratch 0
		.amdhsa_float_round_mode_32 0
		.amdhsa_float_round_mode_16_64 0
		.amdhsa_float_denorm_mode_32 3
		.amdhsa_float_denorm_mode_16_64 3
		.amdhsa_dx10_clamp 1
		.amdhsa_ieee_mode 1
		.amdhsa_fp16_overflow 0
		.amdhsa_exception_fp_ieee_invalid_op 0
		.amdhsa_exception_fp_denorm_src 0
		.amdhsa_exception_fp_ieee_div_zero 0
		.amdhsa_exception_fp_ieee_overflow 0
		.amdhsa_exception_fp_ieee_underflow 0
		.amdhsa_exception_fp_ieee_inexact 0
		.amdhsa_exception_int_div_zero 0
	.end_amdhsa_kernel
	.section	.text._ZN6thrust23THRUST_200600_302600_NS11hip_rocprim14__parallel_for6kernelILj256ENS1_10for_each_fINS0_6detail15normal_iteratorINS0_10device_ptrI11FixedVectorIiLj32EEEEEENS5_16wrapped_functionI24SetFixedVectorToConstantIiLj32EEvEEEElLj1EEEvT0_T1_SI_,"axG",@progbits,_ZN6thrust23THRUST_200600_302600_NS11hip_rocprim14__parallel_for6kernelILj256ENS1_10for_each_fINS0_6detail15normal_iteratorINS0_10device_ptrI11FixedVectorIiLj32EEEEEENS5_16wrapped_functionI24SetFixedVectorToConstantIiLj32EEvEEEElLj1EEEvT0_T1_SI_,comdat
.Lfunc_end46:
	.size	_ZN6thrust23THRUST_200600_302600_NS11hip_rocprim14__parallel_for6kernelILj256ENS1_10for_each_fINS0_6detail15normal_iteratorINS0_10device_ptrI11FixedVectorIiLj32EEEEEENS5_16wrapped_functionI24SetFixedVectorToConstantIiLj32EEvEEEElLj1EEEvT0_T1_SI_, .Lfunc_end46-_ZN6thrust23THRUST_200600_302600_NS11hip_rocprim14__parallel_for6kernelILj256ENS1_10for_each_fINS0_6detail15normal_iteratorINS0_10device_ptrI11FixedVectorIiLj32EEEEEENS5_16wrapped_functionI24SetFixedVectorToConstantIiLj32EEvEEEElLj1EEEvT0_T1_SI_
                                        ; -- End function
	.set _ZN6thrust23THRUST_200600_302600_NS11hip_rocprim14__parallel_for6kernelILj256ENS1_10for_each_fINS0_6detail15normal_iteratorINS0_10device_ptrI11FixedVectorIiLj32EEEEEENS5_16wrapped_functionI24SetFixedVectorToConstantIiLj32EEvEEEElLj1EEEvT0_T1_SI_.num_vgpr, 15
	.set _ZN6thrust23THRUST_200600_302600_NS11hip_rocprim14__parallel_for6kernelILj256ENS1_10for_each_fINS0_6detail15normal_iteratorINS0_10device_ptrI11FixedVectorIiLj32EEEEEENS5_16wrapped_functionI24SetFixedVectorToConstantIiLj32EEvEEEElLj1EEEvT0_T1_SI_.num_agpr, 0
	.set _ZN6thrust23THRUST_200600_302600_NS11hip_rocprim14__parallel_for6kernelILj256ENS1_10for_each_fINS0_6detail15normal_iteratorINS0_10device_ptrI11FixedVectorIiLj32EEEEEENS5_16wrapped_functionI24SetFixedVectorToConstantIiLj32EEvEEEElLj1EEEvT0_T1_SI_.numbered_sgpr, 24
	.set _ZN6thrust23THRUST_200600_302600_NS11hip_rocprim14__parallel_for6kernelILj256ENS1_10for_each_fINS0_6detail15normal_iteratorINS0_10device_ptrI11FixedVectorIiLj32EEEEEENS5_16wrapped_functionI24SetFixedVectorToConstantIiLj32EEvEEEElLj1EEEvT0_T1_SI_.num_named_barrier, 0
	.set _ZN6thrust23THRUST_200600_302600_NS11hip_rocprim14__parallel_for6kernelILj256ENS1_10for_each_fINS0_6detail15normal_iteratorINS0_10device_ptrI11FixedVectorIiLj32EEEEEENS5_16wrapped_functionI24SetFixedVectorToConstantIiLj32EEvEEEElLj1EEEvT0_T1_SI_.private_seg_size, 0
	.set _ZN6thrust23THRUST_200600_302600_NS11hip_rocprim14__parallel_for6kernelILj256ENS1_10for_each_fINS0_6detail15normal_iteratorINS0_10device_ptrI11FixedVectorIiLj32EEEEEENS5_16wrapped_functionI24SetFixedVectorToConstantIiLj32EEvEEEElLj1EEEvT0_T1_SI_.uses_vcc, 1
	.set _ZN6thrust23THRUST_200600_302600_NS11hip_rocprim14__parallel_for6kernelILj256ENS1_10for_each_fINS0_6detail15normal_iteratorINS0_10device_ptrI11FixedVectorIiLj32EEEEEENS5_16wrapped_functionI24SetFixedVectorToConstantIiLj32EEvEEEElLj1EEEvT0_T1_SI_.uses_flat_scratch, 0
	.set _ZN6thrust23THRUST_200600_302600_NS11hip_rocprim14__parallel_for6kernelILj256ENS1_10for_each_fINS0_6detail15normal_iteratorINS0_10device_ptrI11FixedVectorIiLj32EEEEEENS5_16wrapped_functionI24SetFixedVectorToConstantIiLj32EEvEEEElLj1EEEvT0_T1_SI_.has_dyn_sized_stack, 0
	.set _ZN6thrust23THRUST_200600_302600_NS11hip_rocprim14__parallel_for6kernelILj256ENS1_10for_each_fINS0_6detail15normal_iteratorINS0_10device_ptrI11FixedVectorIiLj32EEEEEENS5_16wrapped_functionI24SetFixedVectorToConstantIiLj32EEvEEEElLj1EEEvT0_T1_SI_.has_recursion, 0
	.set _ZN6thrust23THRUST_200600_302600_NS11hip_rocprim14__parallel_for6kernelILj256ENS1_10for_each_fINS0_6detail15normal_iteratorINS0_10device_ptrI11FixedVectorIiLj32EEEEEENS5_16wrapped_functionI24SetFixedVectorToConstantIiLj32EEvEEEElLj1EEEvT0_T1_SI_.has_indirect_call, 0
	.section	.AMDGPU.csdata,"",@progbits
; Kernel info:
; codeLenInByte = 444
; TotalNumSgprs: 28
; NumVgprs: 15
; ScratchSize: 0
; MemoryBound: 0
; FloatMode: 240
; IeeeMode: 1
; LDSByteSize: 0 bytes/workgroup (compile time only)
; SGPRBlocks: 3
; VGPRBlocks: 3
; NumSGPRsForWavesPerEU: 28
; NumVGPRsForWavesPerEU: 15
; Occupancy: 10
; WaveLimiterHint : 1
; COMPUTE_PGM_RSRC2:SCRATCH_EN: 0
; COMPUTE_PGM_RSRC2:USER_SGPR: 6
; COMPUTE_PGM_RSRC2:TRAP_HANDLER: 0
; COMPUTE_PGM_RSRC2:TGID_X_EN: 1
; COMPUTE_PGM_RSRC2:TGID_Y_EN: 0
; COMPUTE_PGM_RSRC2:TGID_Z_EN: 0
; COMPUTE_PGM_RSRC2:TIDIG_COMP_CNT: 0
	.section	.text._ZN6thrust23THRUST_200600_302600_NS11hip_rocprim14__parallel_for6kernelILj256ENS1_10for_each_fINS0_10device_ptrI11FixedVectorIiLj64EEEENS0_6detail16wrapped_functionINS9_23allocator_traits_detail5gozerEvEEEElLj1EEEvT0_T1_SG_,"axG",@progbits,_ZN6thrust23THRUST_200600_302600_NS11hip_rocprim14__parallel_for6kernelILj256ENS1_10for_each_fINS0_10device_ptrI11FixedVectorIiLj64EEEENS0_6detail16wrapped_functionINS9_23allocator_traits_detail5gozerEvEEEElLj1EEEvT0_T1_SG_,comdat
	.protected	_ZN6thrust23THRUST_200600_302600_NS11hip_rocprim14__parallel_for6kernelILj256ENS1_10for_each_fINS0_10device_ptrI11FixedVectorIiLj64EEEENS0_6detail16wrapped_functionINS9_23allocator_traits_detail5gozerEvEEEElLj1EEEvT0_T1_SG_ ; -- Begin function _ZN6thrust23THRUST_200600_302600_NS11hip_rocprim14__parallel_for6kernelILj256ENS1_10for_each_fINS0_10device_ptrI11FixedVectorIiLj64EEEENS0_6detail16wrapped_functionINS9_23allocator_traits_detail5gozerEvEEEElLj1EEEvT0_T1_SG_
	.globl	_ZN6thrust23THRUST_200600_302600_NS11hip_rocprim14__parallel_for6kernelILj256ENS1_10for_each_fINS0_10device_ptrI11FixedVectorIiLj64EEEENS0_6detail16wrapped_functionINS9_23allocator_traits_detail5gozerEvEEEElLj1EEEvT0_T1_SG_
	.p2align	8
	.type	_ZN6thrust23THRUST_200600_302600_NS11hip_rocprim14__parallel_for6kernelILj256ENS1_10for_each_fINS0_10device_ptrI11FixedVectorIiLj64EEEENS0_6detail16wrapped_functionINS9_23allocator_traits_detail5gozerEvEEEElLj1EEEvT0_T1_SG_,@function
_ZN6thrust23THRUST_200600_302600_NS11hip_rocprim14__parallel_for6kernelILj256ENS1_10for_each_fINS0_10device_ptrI11FixedVectorIiLj64EEEENS0_6detail16wrapped_functionINS9_23allocator_traits_detail5gozerEvEEEElLj1EEEvT0_T1_SG_: ; @_ZN6thrust23THRUST_200600_302600_NS11hip_rocprim14__parallel_for6kernelILj256ENS1_10for_each_fINS0_10device_ptrI11FixedVectorIiLj64EEEENS0_6detail16wrapped_functionINS9_23allocator_traits_detail5gozerEvEEEElLj1EEEvT0_T1_SG_
; %bb.0:
	s_endpgm
	.section	.rodata,"a",@progbits
	.p2align	6, 0x0
	.amdhsa_kernel _ZN6thrust23THRUST_200600_302600_NS11hip_rocprim14__parallel_for6kernelILj256ENS1_10for_each_fINS0_10device_ptrI11FixedVectorIiLj64EEEENS0_6detail16wrapped_functionINS9_23allocator_traits_detail5gozerEvEEEElLj1EEEvT0_T1_SG_
		.amdhsa_group_segment_fixed_size 0
		.amdhsa_private_segment_fixed_size 0
		.amdhsa_kernarg_size 32
		.amdhsa_user_sgpr_count 6
		.amdhsa_user_sgpr_private_segment_buffer 1
		.amdhsa_user_sgpr_dispatch_ptr 0
		.amdhsa_user_sgpr_queue_ptr 0
		.amdhsa_user_sgpr_kernarg_segment_ptr 1
		.amdhsa_user_sgpr_dispatch_id 0
		.amdhsa_user_sgpr_flat_scratch_init 0
		.amdhsa_user_sgpr_private_segment_size 0
		.amdhsa_uses_dynamic_stack 0
		.amdhsa_system_sgpr_private_segment_wavefront_offset 0
		.amdhsa_system_sgpr_workgroup_id_x 1
		.amdhsa_system_sgpr_workgroup_id_y 0
		.amdhsa_system_sgpr_workgroup_id_z 0
		.amdhsa_system_sgpr_workgroup_info 0
		.amdhsa_system_vgpr_workitem_id 0
		.amdhsa_next_free_vgpr 1
		.amdhsa_next_free_sgpr 0
		.amdhsa_reserve_vcc 0
		.amdhsa_reserve_flat_scratch 0
		.amdhsa_float_round_mode_32 0
		.amdhsa_float_round_mode_16_64 0
		.amdhsa_float_denorm_mode_32 3
		.amdhsa_float_denorm_mode_16_64 3
		.amdhsa_dx10_clamp 1
		.amdhsa_ieee_mode 1
		.amdhsa_fp16_overflow 0
		.amdhsa_exception_fp_ieee_invalid_op 0
		.amdhsa_exception_fp_denorm_src 0
		.amdhsa_exception_fp_ieee_div_zero 0
		.amdhsa_exception_fp_ieee_overflow 0
		.amdhsa_exception_fp_ieee_underflow 0
		.amdhsa_exception_fp_ieee_inexact 0
		.amdhsa_exception_int_div_zero 0
	.end_amdhsa_kernel
	.section	.text._ZN6thrust23THRUST_200600_302600_NS11hip_rocprim14__parallel_for6kernelILj256ENS1_10for_each_fINS0_10device_ptrI11FixedVectorIiLj64EEEENS0_6detail16wrapped_functionINS9_23allocator_traits_detail5gozerEvEEEElLj1EEEvT0_T1_SG_,"axG",@progbits,_ZN6thrust23THRUST_200600_302600_NS11hip_rocprim14__parallel_for6kernelILj256ENS1_10for_each_fINS0_10device_ptrI11FixedVectorIiLj64EEEENS0_6detail16wrapped_functionINS9_23allocator_traits_detail5gozerEvEEEElLj1EEEvT0_T1_SG_,comdat
.Lfunc_end47:
	.size	_ZN6thrust23THRUST_200600_302600_NS11hip_rocprim14__parallel_for6kernelILj256ENS1_10for_each_fINS0_10device_ptrI11FixedVectorIiLj64EEEENS0_6detail16wrapped_functionINS9_23allocator_traits_detail5gozerEvEEEElLj1EEEvT0_T1_SG_, .Lfunc_end47-_ZN6thrust23THRUST_200600_302600_NS11hip_rocprim14__parallel_for6kernelILj256ENS1_10for_each_fINS0_10device_ptrI11FixedVectorIiLj64EEEENS0_6detail16wrapped_functionINS9_23allocator_traits_detail5gozerEvEEEElLj1EEEvT0_T1_SG_
                                        ; -- End function
	.set _ZN6thrust23THRUST_200600_302600_NS11hip_rocprim14__parallel_for6kernelILj256ENS1_10for_each_fINS0_10device_ptrI11FixedVectorIiLj64EEEENS0_6detail16wrapped_functionINS9_23allocator_traits_detail5gozerEvEEEElLj1EEEvT0_T1_SG_.num_vgpr, 0
	.set _ZN6thrust23THRUST_200600_302600_NS11hip_rocprim14__parallel_for6kernelILj256ENS1_10for_each_fINS0_10device_ptrI11FixedVectorIiLj64EEEENS0_6detail16wrapped_functionINS9_23allocator_traits_detail5gozerEvEEEElLj1EEEvT0_T1_SG_.num_agpr, 0
	.set _ZN6thrust23THRUST_200600_302600_NS11hip_rocprim14__parallel_for6kernelILj256ENS1_10for_each_fINS0_10device_ptrI11FixedVectorIiLj64EEEENS0_6detail16wrapped_functionINS9_23allocator_traits_detail5gozerEvEEEElLj1EEEvT0_T1_SG_.numbered_sgpr, 0
	.set _ZN6thrust23THRUST_200600_302600_NS11hip_rocprim14__parallel_for6kernelILj256ENS1_10for_each_fINS0_10device_ptrI11FixedVectorIiLj64EEEENS0_6detail16wrapped_functionINS9_23allocator_traits_detail5gozerEvEEEElLj1EEEvT0_T1_SG_.num_named_barrier, 0
	.set _ZN6thrust23THRUST_200600_302600_NS11hip_rocprim14__parallel_for6kernelILj256ENS1_10for_each_fINS0_10device_ptrI11FixedVectorIiLj64EEEENS0_6detail16wrapped_functionINS9_23allocator_traits_detail5gozerEvEEEElLj1EEEvT0_T1_SG_.private_seg_size, 0
	.set _ZN6thrust23THRUST_200600_302600_NS11hip_rocprim14__parallel_for6kernelILj256ENS1_10for_each_fINS0_10device_ptrI11FixedVectorIiLj64EEEENS0_6detail16wrapped_functionINS9_23allocator_traits_detail5gozerEvEEEElLj1EEEvT0_T1_SG_.uses_vcc, 0
	.set _ZN6thrust23THRUST_200600_302600_NS11hip_rocprim14__parallel_for6kernelILj256ENS1_10for_each_fINS0_10device_ptrI11FixedVectorIiLj64EEEENS0_6detail16wrapped_functionINS9_23allocator_traits_detail5gozerEvEEEElLj1EEEvT0_T1_SG_.uses_flat_scratch, 0
	.set _ZN6thrust23THRUST_200600_302600_NS11hip_rocprim14__parallel_for6kernelILj256ENS1_10for_each_fINS0_10device_ptrI11FixedVectorIiLj64EEEENS0_6detail16wrapped_functionINS9_23allocator_traits_detail5gozerEvEEEElLj1EEEvT0_T1_SG_.has_dyn_sized_stack, 0
	.set _ZN6thrust23THRUST_200600_302600_NS11hip_rocprim14__parallel_for6kernelILj256ENS1_10for_each_fINS0_10device_ptrI11FixedVectorIiLj64EEEENS0_6detail16wrapped_functionINS9_23allocator_traits_detail5gozerEvEEEElLj1EEEvT0_T1_SG_.has_recursion, 0
	.set _ZN6thrust23THRUST_200600_302600_NS11hip_rocprim14__parallel_for6kernelILj256ENS1_10for_each_fINS0_10device_ptrI11FixedVectorIiLj64EEEENS0_6detail16wrapped_functionINS9_23allocator_traits_detail5gozerEvEEEElLj1EEEvT0_T1_SG_.has_indirect_call, 0
	.section	.AMDGPU.csdata,"",@progbits
; Kernel info:
; codeLenInByte = 4
; TotalNumSgprs: 4
; NumVgprs: 0
; ScratchSize: 0
; MemoryBound: 0
; FloatMode: 240
; IeeeMode: 1
; LDSByteSize: 0 bytes/workgroup (compile time only)
; SGPRBlocks: 0
; VGPRBlocks: 0
; NumSGPRsForWavesPerEU: 4
; NumVGPRsForWavesPerEU: 1
; Occupancy: 10
; WaveLimiterHint : 0
; COMPUTE_PGM_RSRC2:SCRATCH_EN: 0
; COMPUTE_PGM_RSRC2:USER_SGPR: 6
; COMPUTE_PGM_RSRC2:TRAP_HANDLER: 0
; COMPUTE_PGM_RSRC2:TGID_X_EN: 1
; COMPUTE_PGM_RSRC2:TGID_Y_EN: 0
; COMPUTE_PGM_RSRC2:TGID_Z_EN: 0
; COMPUTE_PGM_RSRC2:TIDIG_COMP_CNT: 0
	.section	.text._ZN6thrust23THRUST_200600_302600_NS11hip_rocprim14__parallel_for6kernelILj256ENS1_10for_each_fINS0_6detail15normal_iteratorINS0_10device_ptrI11FixedVectorIiLj64EEEEEENS5_16wrapped_functionI24SetFixedVectorToConstantIiLj64EEvEEEElLj1EEEvT0_T1_SI_,"axG",@progbits,_ZN6thrust23THRUST_200600_302600_NS11hip_rocprim14__parallel_for6kernelILj256ENS1_10for_each_fINS0_6detail15normal_iteratorINS0_10device_ptrI11FixedVectorIiLj64EEEEEENS5_16wrapped_functionI24SetFixedVectorToConstantIiLj64EEvEEEElLj1EEEvT0_T1_SI_,comdat
	.protected	_ZN6thrust23THRUST_200600_302600_NS11hip_rocprim14__parallel_for6kernelILj256ENS1_10for_each_fINS0_6detail15normal_iteratorINS0_10device_ptrI11FixedVectorIiLj64EEEEEENS5_16wrapped_functionI24SetFixedVectorToConstantIiLj64EEvEEEElLj1EEEvT0_T1_SI_ ; -- Begin function _ZN6thrust23THRUST_200600_302600_NS11hip_rocprim14__parallel_for6kernelILj256ENS1_10for_each_fINS0_6detail15normal_iteratorINS0_10device_ptrI11FixedVectorIiLj64EEEEEENS5_16wrapped_functionI24SetFixedVectorToConstantIiLj64EEvEEEElLj1EEEvT0_T1_SI_
	.globl	_ZN6thrust23THRUST_200600_302600_NS11hip_rocprim14__parallel_for6kernelILj256ENS1_10for_each_fINS0_6detail15normal_iteratorINS0_10device_ptrI11FixedVectorIiLj64EEEEEENS5_16wrapped_functionI24SetFixedVectorToConstantIiLj64EEvEEEElLj1EEEvT0_T1_SI_
	.p2align	8
	.type	_ZN6thrust23THRUST_200600_302600_NS11hip_rocprim14__parallel_for6kernelILj256ENS1_10for_each_fINS0_6detail15normal_iteratorINS0_10device_ptrI11FixedVectorIiLj64EEEEEENS5_16wrapped_functionI24SetFixedVectorToConstantIiLj64EEvEEEElLj1EEEvT0_T1_SI_,@function
_ZN6thrust23THRUST_200600_302600_NS11hip_rocprim14__parallel_for6kernelILj256ENS1_10for_each_fINS0_6detail15normal_iteratorINS0_10device_ptrI11FixedVectorIiLj64EEEEEENS5_16wrapped_functionI24SetFixedVectorToConstantIiLj64EEvEEEElLj1EEEvT0_T1_SI_: ; @_ZN6thrust23THRUST_200600_302600_NS11hip_rocprim14__parallel_for6kernelILj256ENS1_10for_each_fINS0_6detail15normal_iteratorINS0_10device_ptrI11FixedVectorIiLj64EEEEEENS5_16wrapped_functionI24SetFixedVectorToConstantIiLj64EEvEEEElLj1EEEvT0_T1_SI_
; %bb.0:
	s_load_dwordx4 s[8:11], s[4:5], 0x108
	s_load_dwordx2 s[0:1], s[4:5], 0x0
	s_lshl_b32 s2, s6, 8
	v_mov_b32_e32 v1, 0x100
	v_mov_b32_e32 v2, 0
	s_waitcnt lgkmcnt(0)
	s_add_u32 s6, s10, s2
	s_addc_u32 s7, s11, 0
	s_sub_u32 s2, s8, s6
	s_subb_u32 s3, s9, s7
	v_cmp_lt_i64_e32 vcc, s[2:3], v[1:2]
	s_and_b64 s[8:9], vcc, exec
	s_cselect_b32 s2, s2, 0x100
	s_cmpk_eq_i32 s2, 0x100
	s_cbranch_scc1 .LBB48_4
; %bb.1:
	v_cmp_gt_u32_e32 vcc, s2, v0
	s_mov_b64 s[8:9], 0
	s_mov_b64 s[2:3], 0
                                        ; implicit-def: $vgpr1_vgpr2
	s_and_saveexec_b64 s[10:11], vcc
; %bb.2:
	s_lshl_b64 s[12:13], s[6:7], 8
	s_add_u32 s12, s0, s12
	s_addc_u32 s13, s1, s13
	v_lshlrev_b32_e32 v1, 8, v0
	v_mov_b32_e32 v2, s13
	v_add_co_u32_e32 v1, vcc, s12, v1
	s_mov_b64 s[2:3], exec
	v_addc_co_u32_e32 v2, vcc, 0, v2, vcc
; %bb.3:
	s_or_b64 exec, exec, s[10:11]
	s_and_b64 vcc, exec, s[8:9]
	s_cbranch_vccnz .LBB48_5
	s_branch .LBB48_6
.LBB48_4:
	s_mov_b64 s[2:3], 0
                                        ; implicit-def: $vgpr1_vgpr2
	s_cbranch_execz .LBB48_6
.LBB48_5:
	s_lshl_b64 s[6:7], s[6:7], 8
	s_add_u32 s0, s0, s6
	s_addc_u32 s1, s1, s7
	v_lshlrev_b32_e32 v0, 8, v0
	v_mov_b32_e32 v2, s1
	v_add_co_u32_e32 v1, vcc, s0, v0
	v_addc_co_u32_e32 v2, vcc, 0, v2, vcc
	s_or_b64 s[2:3], s[2:3], exec
.LBB48_6:
	s_and_saveexec_b64 s[0:1], s[2:3]
	s_cbranch_execnz .LBB48_8
; %bb.7:
	s_endpgm
.LBB48_8:
	s_load_dwordx8 s[8:15], s[4:5], 0x8
	s_load_dwordx8 s[16:23], s[4:5], 0x28
	s_load_dwordx8 s[24:31], s[4:5], 0xe8
	s_load_dwordx8 s[36:43], s[4:5], 0x48
	s_load_dwordx8 s[44:51], s[4:5], 0x68
	s_load_dwordx8 s[52:59], s[4:5], 0x88
	s_load_dwordx8 s[60:67], s[4:5], 0xc8
	s_waitcnt lgkmcnt(0)
	v_mov_b32_e32 v3, s28
	v_mov_b32_e32 v7, s24
	;; [unrolled: 1-line block ×8, first 2 shown]
	s_load_dwordx8 s[24:31], s[4:5], 0xa8
	flat_store_dwordx4 v[1:2], v[3:6] offset:240
	flat_store_dwordx4 v[1:2], v[7:10] offset:224
	v_mov_b32_e32 v3, s64
	v_mov_b32_e32 v4, s65
	;; [unrolled: 1-line block ×4, first 2 shown]
	flat_store_dwordx4 v[1:2], v[3:6] offset:208
	s_nop 0
	v_mov_b32_e32 v3, s60
	v_mov_b32_e32 v4, s61
	;; [unrolled: 1-line block ×4, first 2 shown]
	flat_store_dwordx4 v[1:2], v[3:6] offset:192
	s_waitcnt lgkmcnt(0)
	v_mov_b32_e32 v3, s28
	v_mov_b32_e32 v4, s29
	v_mov_b32_e32 v5, s30
	v_mov_b32_e32 v6, s31
	flat_store_dwordx4 v[1:2], v[3:6] offset:176
	s_nop 0
	v_mov_b32_e32 v3, s24
	v_mov_b32_e32 v4, s25
	v_mov_b32_e32 v5, s26
	v_mov_b32_e32 v6, s27
	flat_store_dwordx4 v[1:2], v[3:6] offset:160
	s_nop 0
	;; [unrolled: 6-line block ×11, first 2 shown]
	v_mov_b32_e32 v3, s8
	v_mov_b32_e32 v4, s9
	;; [unrolled: 1-line block ×4, first 2 shown]
	flat_store_dwordx4 v[1:2], v[3:6]
	s_endpgm
	.section	.rodata,"a",@progbits
	.p2align	6, 0x0
	.amdhsa_kernel _ZN6thrust23THRUST_200600_302600_NS11hip_rocprim14__parallel_for6kernelILj256ENS1_10for_each_fINS0_6detail15normal_iteratorINS0_10device_ptrI11FixedVectorIiLj64EEEEEENS5_16wrapped_functionI24SetFixedVectorToConstantIiLj64EEvEEEElLj1EEEvT0_T1_SI_
		.amdhsa_group_segment_fixed_size 0
		.amdhsa_private_segment_fixed_size 0
		.amdhsa_kernarg_size 280
		.amdhsa_user_sgpr_count 6
		.amdhsa_user_sgpr_private_segment_buffer 1
		.amdhsa_user_sgpr_dispatch_ptr 0
		.amdhsa_user_sgpr_queue_ptr 0
		.amdhsa_user_sgpr_kernarg_segment_ptr 1
		.amdhsa_user_sgpr_dispatch_id 0
		.amdhsa_user_sgpr_flat_scratch_init 0
		.amdhsa_user_sgpr_private_segment_size 0
		.amdhsa_uses_dynamic_stack 0
		.amdhsa_system_sgpr_private_segment_wavefront_offset 0
		.amdhsa_system_sgpr_workgroup_id_x 1
		.amdhsa_system_sgpr_workgroup_id_y 0
		.amdhsa_system_sgpr_workgroup_id_z 0
		.amdhsa_system_sgpr_workgroup_info 0
		.amdhsa_system_vgpr_workitem_id 0
		.amdhsa_next_free_vgpr 11
		.amdhsa_next_free_sgpr 68
		.amdhsa_reserve_vcc 1
		.amdhsa_reserve_flat_scratch 0
		.amdhsa_float_round_mode_32 0
		.amdhsa_float_round_mode_16_64 0
		.amdhsa_float_denorm_mode_32 3
		.amdhsa_float_denorm_mode_16_64 3
		.amdhsa_dx10_clamp 1
		.amdhsa_ieee_mode 1
		.amdhsa_fp16_overflow 0
		.amdhsa_exception_fp_ieee_invalid_op 0
		.amdhsa_exception_fp_denorm_src 0
		.amdhsa_exception_fp_ieee_div_zero 0
		.amdhsa_exception_fp_ieee_overflow 0
		.amdhsa_exception_fp_ieee_underflow 0
		.amdhsa_exception_fp_ieee_inexact 0
		.amdhsa_exception_int_div_zero 0
	.end_amdhsa_kernel
	.section	.text._ZN6thrust23THRUST_200600_302600_NS11hip_rocprim14__parallel_for6kernelILj256ENS1_10for_each_fINS0_6detail15normal_iteratorINS0_10device_ptrI11FixedVectorIiLj64EEEEEENS5_16wrapped_functionI24SetFixedVectorToConstantIiLj64EEvEEEElLj1EEEvT0_T1_SI_,"axG",@progbits,_ZN6thrust23THRUST_200600_302600_NS11hip_rocprim14__parallel_for6kernelILj256ENS1_10for_each_fINS0_6detail15normal_iteratorINS0_10device_ptrI11FixedVectorIiLj64EEEEEENS5_16wrapped_functionI24SetFixedVectorToConstantIiLj64EEvEEEElLj1EEEvT0_T1_SI_,comdat
.Lfunc_end48:
	.size	_ZN6thrust23THRUST_200600_302600_NS11hip_rocprim14__parallel_for6kernelILj256ENS1_10for_each_fINS0_6detail15normal_iteratorINS0_10device_ptrI11FixedVectorIiLj64EEEEEENS5_16wrapped_functionI24SetFixedVectorToConstantIiLj64EEvEEEElLj1EEEvT0_T1_SI_, .Lfunc_end48-_ZN6thrust23THRUST_200600_302600_NS11hip_rocprim14__parallel_for6kernelILj256ENS1_10for_each_fINS0_6detail15normal_iteratorINS0_10device_ptrI11FixedVectorIiLj64EEEEEENS5_16wrapped_functionI24SetFixedVectorToConstantIiLj64EEvEEEElLj1EEEvT0_T1_SI_
                                        ; -- End function
	.set _ZN6thrust23THRUST_200600_302600_NS11hip_rocprim14__parallel_for6kernelILj256ENS1_10for_each_fINS0_6detail15normal_iteratorINS0_10device_ptrI11FixedVectorIiLj64EEEEEENS5_16wrapped_functionI24SetFixedVectorToConstantIiLj64EEvEEEElLj1EEEvT0_T1_SI_.num_vgpr, 11
	.set _ZN6thrust23THRUST_200600_302600_NS11hip_rocprim14__parallel_for6kernelILj256ENS1_10for_each_fINS0_6detail15normal_iteratorINS0_10device_ptrI11FixedVectorIiLj64EEEEEENS5_16wrapped_functionI24SetFixedVectorToConstantIiLj64EEvEEEElLj1EEEvT0_T1_SI_.num_agpr, 0
	.set _ZN6thrust23THRUST_200600_302600_NS11hip_rocprim14__parallel_for6kernelILj256ENS1_10for_each_fINS0_6detail15normal_iteratorINS0_10device_ptrI11FixedVectorIiLj64EEEEEENS5_16wrapped_functionI24SetFixedVectorToConstantIiLj64EEvEEEElLj1EEEvT0_T1_SI_.numbered_sgpr, 68
	.set _ZN6thrust23THRUST_200600_302600_NS11hip_rocprim14__parallel_for6kernelILj256ENS1_10for_each_fINS0_6detail15normal_iteratorINS0_10device_ptrI11FixedVectorIiLj64EEEEEENS5_16wrapped_functionI24SetFixedVectorToConstantIiLj64EEvEEEElLj1EEEvT0_T1_SI_.num_named_barrier, 0
	.set _ZN6thrust23THRUST_200600_302600_NS11hip_rocprim14__parallel_for6kernelILj256ENS1_10for_each_fINS0_6detail15normal_iteratorINS0_10device_ptrI11FixedVectorIiLj64EEEEEENS5_16wrapped_functionI24SetFixedVectorToConstantIiLj64EEvEEEElLj1EEEvT0_T1_SI_.private_seg_size, 0
	.set _ZN6thrust23THRUST_200600_302600_NS11hip_rocprim14__parallel_for6kernelILj256ENS1_10for_each_fINS0_6detail15normal_iteratorINS0_10device_ptrI11FixedVectorIiLj64EEEEEENS5_16wrapped_functionI24SetFixedVectorToConstantIiLj64EEvEEEElLj1EEEvT0_T1_SI_.uses_vcc, 1
	.set _ZN6thrust23THRUST_200600_302600_NS11hip_rocprim14__parallel_for6kernelILj256ENS1_10for_each_fINS0_6detail15normal_iteratorINS0_10device_ptrI11FixedVectorIiLj64EEEEEENS5_16wrapped_functionI24SetFixedVectorToConstantIiLj64EEvEEEElLj1EEEvT0_T1_SI_.uses_flat_scratch, 0
	.set _ZN6thrust23THRUST_200600_302600_NS11hip_rocprim14__parallel_for6kernelILj256ENS1_10for_each_fINS0_6detail15normal_iteratorINS0_10device_ptrI11FixedVectorIiLj64EEEEEENS5_16wrapped_functionI24SetFixedVectorToConstantIiLj64EEvEEEElLj1EEEvT0_T1_SI_.has_dyn_sized_stack, 0
	.set _ZN6thrust23THRUST_200600_302600_NS11hip_rocprim14__parallel_for6kernelILj256ENS1_10for_each_fINS0_6detail15normal_iteratorINS0_10device_ptrI11FixedVectorIiLj64EEEEEENS5_16wrapped_functionI24SetFixedVectorToConstantIiLj64EEvEEEElLj1EEEvT0_T1_SI_.has_recursion, 0
	.set _ZN6thrust23THRUST_200600_302600_NS11hip_rocprim14__parallel_for6kernelILj256ENS1_10for_each_fINS0_6detail15normal_iteratorINS0_10device_ptrI11FixedVectorIiLj64EEEEEENS5_16wrapped_functionI24SetFixedVectorToConstantIiLj64EEvEEEElLj1EEEvT0_T1_SI_.has_indirect_call, 0
	.section	.AMDGPU.csdata,"",@progbits
; Kernel info:
; codeLenInByte = 700
; TotalNumSgprs: 72
; NumVgprs: 11
; ScratchSize: 0
; MemoryBound: 0
; FloatMode: 240
; IeeeMode: 1
; LDSByteSize: 0 bytes/workgroup (compile time only)
; SGPRBlocks: 8
; VGPRBlocks: 2
; NumSGPRsForWavesPerEU: 72
; NumVGPRsForWavesPerEU: 11
; Occupancy: 10
; WaveLimiterHint : 1
; COMPUTE_PGM_RSRC2:SCRATCH_EN: 0
; COMPUTE_PGM_RSRC2:USER_SGPR: 6
; COMPUTE_PGM_RSRC2:TRAP_HANDLER: 0
; COMPUTE_PGM_RSRC2:TGID_X_EN: 1
; COMPUTE_PGM_RSRC2:TGID_Y_EN: 0
; COMPUTE_PGM_RSRC2:TGID_Z_EN: 0
; COMPUTE_PGM_RSRC2:TIDIG_COMP_CNT: 0
	.section	.text._ZN6thrust23THRUST_200600_302600_NS11hip_rocprim14__parallel_for6kernelILj256ENS1_10for_each_fINS0_10device_ptrI11FixedVectorIiLj128EEEENS0_6detail16wrapped_functionINS9_23allocator_traits_detail5gozerEvEEEElLj1EEEvT0_T1_SG_,"axG",@progbits,_ZN6thrust23THRUST_200600_302600_NS11hip_rocprim14__parallel_for6kernelILj256ENS1_10for_each_fINS0_10device_ptrI11FixedVectorIiLj128EEEENS0_6detail16wrapped_functionINS9_23allocator_traits_detail5gozerEvEEEElLj1EEEvT0_T1_SG_,comdat
	.protected	_ZN6thrust23THRUST_200600_302600_NS11hip_rocprim14__parallel_for6kernelILj256ENS1_10for_each_fINS0_10device_ptrI11FixedVectorIiLj128EEEENS0_6detail16wrapped_functionINS9_23allocator_traits_detail5gozerEvEEEElLj1EEEvT0_T1_SG_ ; -- Begin function _ZN6thrust23THRUST_200600_302600_NS11hip_rocprim14__parallel_for6kernelILj256ENS1_10for_each_fINS0_10device_ptrI11FixedVectorIiLj128EEEENS0_6detail16wrapped_functionINS9_23allocator_traits_detail5gozerEvEEEElLj1EEEvT0_T1_SG_
	.globl	_ZN6thrust23THRUST_200600_302600_NS11hip_rocprim14__parallel_for6kernelILj256ENS1_10for_each_fINS0_10device_ptrI11FixedVectorIiLj128EEEENS0_6detail16wrapped_functionINS9_23allocator_traits_detail5gozerEvEEEElLj1EEEvT0_T1_SG_
	.p2align	8
	.type	_ZN6thrust23THRUST_200600_302600_NS11hip_rocprim14__parallel_for6kernelILj256ENS1_10for_each_fINS0_10device_ptrI11FixedVectorIiLj128EEEENS0_6detail16wrapped_functionINS9_23allocator_traits_detail5gozerEvEEEElLj1EEEvT0_T1_SG_,@function
_ZN6thrust23THRUST_200600_302600_NS11hip_rocprim14__parallel_for6kernelILj256ENS1_10for_each_fINS0_10device_ptrI11FixedVectorIiLj128EEEENS0_6detail16wrapped_functionINS9_23allocator_traits_detail5gozerEvEEEElLj1EEEvT0_T1_SG_: ; @_ZN6thrust23THRUST_200600_302600_NS11hip_rocprim14__parallel_for6kernelILj256ENS1_10for_each_fINS0_10device_ptrI11FixedVectorIiLj128EEEENS0_6detail16wrapped_functionINS9_23allocator_traits_detail5gozerEvEEEElLj1EEEvT0_T1_SG_
; %bb.0:
	s_endpgm
	.section	.rodata,"a",@progbits
	.p2align	6, 0x0
	.amdhsa_kernel _ZN6thrust23THRUST_200600_302600_NS11hip_rocprim14__parallel_for6kernelILj256ENS1_10for_each_fINS0_10device_ptrI11FixedVectorIiLj128EEEENS0_6detail16wrapped_functionINS9_23allocator_traits_detail5gozerEvEEEElLj1EEEvT0_T1_SG_
		.amdhsa_group_segment_fixed_size 0
		.amdhsa_private_segment_fixed_size 0
		.amdhsa_kernarg_size 32
		.amdhsa_user_sgpr_count 6
		.amdhsa_user_sgpr_private_segment_buffer 1
		.amdhsa_user_sgpr_dispatch_ptr 0
		.amdhsa_user_sgpr_queue_ptr 0
		.amdhsa_user_sgpr_kernarg_segment_ptr 1
		.amdhsa_user_sgpr_dispatch_id 0
		.amdhsa_user_sgpr_flat_scratch_init 0
		.amdhsa_user_sgpr_private_segment_size 0
		.amdhsa_uses_dynamic_stack 0
		.amdhsa_system_sgpr_private_segment_wavefront_offset 0
		.amdhsa_system_sgpr_workgroup_id_x 1
		.amdhsa_system_sgpr_workgroup_id_y 0
		.amdhsa_system_sgpr_workgroup_id_z 0
		.amdhsa_system_sgpr_workgroup_info 0
		.amdhsa_system_vgpr_workitem_id 0
		.amdhsa_next_free_vgpr 1
		.amdhsa_next_free_sgpr 0
		.amdhsa_reserve_vcc 0
		.amdhsa_reserve_flat_scratch 0
		.amdhsa_float_round_mode_32 0
		.amdhsa_float_round_mode_16_64 0
		.amdhsa_float_denorm_mode_32 3
		.amdhsa_float_denorm_mode_16_64 3
		.amdhsa_dx10_clamp 1
		.amdhsa_ieee_mode 1
		.amdhsa_fp16_overflow 0
		.amdhsa_exception_fp_ieee_invalid_op 0
		.amdhsa_exception_fp_denorm_src 0
		.amdhsa_exception_fp_ieee_div_zero 0
		.amdhsa_exception_fp_ieee_overflow 0
		.amdhsa_exception_fp_ieee_underflow 0
		.amdhsa_exception_fp_ieee_inexact 0
		.amdhsa_exception_int_div_zero 0
	.end_amdhsa_kernel
	.section	.text._ZN6thrust23THRUST_200600_302600_NS11hip_rocprim14__parallel_for6kernelILj256ENS1_10for_each_fINS0_10device_ptrI11FixedVectorIiLj128EEEENS0_6detail16wrapped_functionINS9_23allocator_traits_detail5gozerEvEEEElLj1EEEvT0_T1_SG_,"axG",@progbits,_ZN6thrust23THRUST_200600_302600_NS11hip_rocprim14__parallel_for6kernelILj256ENS1_10for_each_fINS0_10device_ptrI11FixedVectorIiLj128EEEENS0_6detail16wrapped_functionINS9_23allocator_traits_detail5gozerEvEEEElLj1EEEvT0_T1_SG_,comdat
.Lfunc_end49:
	.size	_ZN6thrust23THRUST_200600_302600_NS11hip_rocprim14__parallel_for6kernelILj256ENS1_10for_each_fINS0_10device_ptrI11FixedVectorIiLj128EEEENS0_6detail16wrapped_functionINS9_23allocator_traits_detail5gozerEvEEEElLj1EEEvT0_T1_SG_, .Lfunc_end49-_ZN6thrust23THRUST_200600_302600_NS11hip_rocprim14__parallel_for6kernelILj256ENS1_10for_each_fINS0_10device_ptrI11FixedVectorIiLj128EEEENS0_6detail16wrapped_functionINS9_23allocator_traits_detail5gozerEvEEEElLj1EEEvT0_T1_SG_
                                        ; -- End function
	.set _ZN6thrust23THRUST_200600_302600_NS11hip_rocprim14__parallel_for6kernelILj256ENS1_10for_each_fINS0_10device_ptrI11FixedVectorIiLj128EEEENS0_6detail16wrapped_functionINS9_23allocator_traits_detail5gozerEvEEEElLj1EEEvT0_T1_SG_.num_vgpr, 0
	.set _ZN6thrust23THRUST_200600_302600_NS11hip_rocprim14__parallel_for6kernelILj256ENS1_10for_each_fINS0_10device_ptrI11FixedVectorIiLj128EEEENS0_6detail16wrapped_functionINS9_23allocator_traits_detail5gozerEvEEEElLj1EEEvT0_T1_SG_.num_agpr, 0
	.set _ZN6thrust23THRUST_200600_302600_NS11hip_rocprim14__parallel_for6kernelILj256ENS1_10for_each_fINS0_10device_ptrI11FixedVectorIiLj128EEEENS0_6detail16wrapped_functionINS9_23allocator_traits_detail5gozerEvEEEElLj1EEEvT0_T1_SG_.numbered_sgpr, 0
	.set _ZN6thrust23THRUST_200600_302600_NS11hip_rocprim14__parallel_for6kernelILj256ENS1_10for_each_fINS0_10device_ptrI11FixedVectorIiLj128EEEENS0_6detail16wrapped_functionINS9_23allocator_traits_detail5gozerEvEEEElLj1EEEvT0_T1_SG_.num_named_barrier, 0
	.set _ZN6thrust23THRUST_200600_302600_NS11hip_rocprim14__parallel_for6kernelILj256ENS1_10for_each_fINS0_10device_ptrI11FixedVectorIiLj128EEEENS0_6detail16wrapped_functionINS9_23allocator_traits_detail5gozerEvEEEElLj1EEEvT0_T1_SG_.private_seg_size, 0
	.set _ZN6thrust23THRUST_200600_302600_NS11hip_rocprim14__parallel_for6kernelILj256ENS1_10for_each_fINS0_10device_ptrI11FixedVectorIiLj128EEEENS0_6detail16wrapped_functionINS9_23allocator_traits_detail5gozerEvEEEElLj1EEEvT0_T1_SG_.uses_vcc, 0
	.set _ZN6thrust23THRUST_200600_302600_NS11hip_rocprim14__parallel_for6kernelILj256ENS1_10for_each_fINS0_10device_ptrI11FixedVectorIiLj128EEEENS0_6detail16wrapped_functionINS9_23allocator_traits_detail5gozerEvEEEElLj1EEEvT0_T1_SG_.uses_flat_scratch, 0
	.set _ZN6thrust23THRUST_200600_302600_NS11hip_rocprim14__parallel_for6kernelILj256ENS1_10for_each_fINS0_10device_ptrI11FixedVectorIiLj128EEEENS0_6detail16wrapped_functionINS9_23allocator_traits_detail5gozerEvEEEElLj1EEEvT0_T1_SG_.has_dyn_sized_stack, 0
	.set _ZN6thrust23THRUST_200600_302600_NS11hip_rocprim14__parallel_for6kernelILj256ENS1_10for_each_fINS0_10device_ptrI11FixedVectorIiLj128EEEENS0_6detail16wrapped_functionINS9_23allocator_traits_detail5gozerEvEEEElLj1EEEvT0_T1_SG_.has_recursion, 0
	.set _ZN6thrust23THRUST_200600_302600_NS11hip_rocprim14__parallel_for6kernelILj256ENS1_10for_each_fINS0_10device_ptrI11FixedVectorIiLj128EEEENS0_6detail16wrapped_functionINS9_23allocator_traits_detail5gozerEvEEEElLj1EEEvT0_T1_SG_.has_indirect_call, 0
	.section	.AMDGPU.csdata,"",@progbits
; Kernel info:
; codeLenInByte = 4
; TotalNumSgprs: 4
; NumVgprs: 0
; ScratchSize: 0
; MemoryBound: 0
; FloatMode: 240
; IeeeMode: 1
; LDSByteSize: 0 bytes/workgroup (compile time only)
; SGPRBlocks: 0
; VGPRBlocks: 0
; NumSGPRsForWavesPerEU: 4
; NumVGPRsForWavesPerEU: 1
; Occupancy: 10
; WaveLimiterHint : 0
; COMPUTE_PGM_RSRC2:SCRATCH_EN: 0
; COMPUTE_PGM_RSRC2:USER_SGPR: 6
; COMPUTE_PGM_RSRC2:TRAP_HANDLER: 0
; COMPUTE_PGM_RSRC2:TGID_X_EN: 1
; COMPUTE_PGM_RSRC2:TGID_Y_EN: 0
; COMPUTE_PGM_RSRC2:TGID_Z_EN: 0
; COMPUTE_PGM_RSRC2:TIDIG_COMP_CNT: 0
	.section	.text._ZN6thrust23THRUST_200600_302600_NS11hip_rocprim14__parallel_for6kernelILj256ENS1_10for_each_fINS0_6detail15normal_iteratorINS0_10device_ptrI11FixedVectorIiLj128EEEEEENS5_16wrapped_functionI24SetFixedVectorToConstantIiLj128EEvEEEElLj1EEEvT0_T1_SI_,"axG",@progbits,_ZN6thrust23THRUST_200600_302600_NS11hip_rocprim14__parallel_for6kernelILj256ENS1_10for_each_fINS0_6detail15normal_iteratorINS0_10device_ptrI11FixedVectorIiLj128EEEEEENS5_16wrapped_functionI24SetFixedVectorToConstantIiLj128EEvEEEElLj1EEEvT0_T1_SI_,comdat
	.protected	_ZN6thrust23THRUST_200600_302600_NS11hip_rocprim14__parallel_for6kernelILj256ENS1_10for_each_fINS0_6detail15normal_iteratorINS0_10device_ptrI11FixedVectorIiLj128EEEEEENS5_16wrapped_functionI24SetFixedVectorToConstantIiLj128EEvEEEElLj1EEEvT0_T1_SI_ ; -- Begin function _ZN6thrust23THRUST_200600_302600_NS11hip_rocprim14__parallel_for6kernelILj256ENS1_10for_each_fINS0_6detail15normal_iteratorINS0_10device_ptrI11FixedVectorIiLj128EEEEEENS5_16wrapped_functionI24SetFixedVectorToConstantIiLj128EEvEEEElLj1EEEvT0_T1_SI_
	.globl	_ZN6thrust23THRUST_200600_302600_NS11hip_rocprim14__parallel_for6kernelILj256ENS1_10for_each_fINS0_6detail15normal_iteratorINS0_10device_ptrI11FixedVectorIiLj128EEEEEENS5_16wrapped_functionI24SetFixedVectorToConstantIiLj128EEvEEEElLj1EEEvT0_T1_SI_
	.p2align	8
	.type	_ZN6thrust23THRUST_200600_302600_NS11hip_rocprim14__parallel_for6kernelILj256ENS1_10for_each_fINS0_6detail15normal_iteratorINS0_10device_ptrI11FixedVectorIiLj128EEEEEENS5_16wrapped_functionI24SetFixedVectorToConstantIiLj128EEvEEEElLj1EEEvT0_T1_SI_,@function
_ZN6thrust23THRUST_200600_302600_NS11hip_rocprim14__parallel_for6kernelILj256ENS1_10for_each_fINS0_6detail15normal_iteratorINS0_10device_ptrI11FixedVectorIiLj128EEEEEENS5_16wrapped_functionI24SetFixedVectorToConstantIiLj128EEvEEEElLj1EEEvT0_T1_SI_: ; @_ZN6thrust23THRUST_200600_302600_NS11hip_rocprim14__parallel_for6kernelILj256ENS1_10for_each_fINS0_6detail15normal_iteratorINS0_10device_ptrI11FixedVectorIiLj128EEEEEENS5_16wrapped_functionI24SetFixedVectorToConstantIiLj128EEvEEEElLj1EEEvT0_T1_SI_
; %bb.0:
	s_load_dwordx4 s[8:11], s[4:5], 0x208
	s_load_dwordx2 s[0:1], s[4:5], 0x0
	s_lshl_b32 s2, s6, 8
	v_mov_b32_e32 v1, 0x100
	v_mov_b32_e32 v2, 0
	s_waitcnt lgkmcnt(0)
	s_add_u32 s6, s10, s2
	s_addc_u32 s7, s11, 0
	s_sub_u32 s2, s8, s6
	s_subb_u32 s3, s9, s7
	v_cmp_lt_i64_e32 vcc, s[2:3], v[1:2]
	s_and_b64 s[8:9], vcc, exec
	s_cselect_b32 s2, s2, 0x100
	s_cmpk_eq_i32 s2, 0x100
	s_cbranch_scc1 .LBB50_4
; %bb.1:
	v_cmp_gt_u32_e32 vcc, s2, v0
	s_mov_b64 s[8:9], 0
	s_mov_b64 s[2:3], 0
                                        ; implicit-def: $vgpr1_vgpr2
	s_and_saveexec_b64 s[10:11], vcc
; %bb.2:
	s_lshl_b64 s[12:13], s[6:7], 9
	s_add_u32 s12, s0, s12
	s_addc_u32 s13, s1, s13
	v_lshlrev_b32_e32 v1, 9, v0
	v_mov_b32_e32 v2, s13
	v_add_co_u32_e32 v1, vcc, s12, v1
	s_mov_b64 s[2:3], exec
	v_addc_co_u32_e32 v2, vcc, 0, v2, vcc
; %bb.3:
	s_or_b64 exec, exec, s[10:11]
	s_and_b64 vcc, exec, s[8:9]
	s_cbranch_vccnz .LBB50_5
	s_branch .LBB50_6
.LBB50_4:
	s_mov_b64 s[2:3], 0
                                        ; implicit-def: $vgpr1_vgpr2
	s_cbranch_execz .LBB50_6
.LBB50_5:
	s_lshl_b64 s[6:7], s[6:7], 9
	s_add_u32 s0, s0, s6
	s_addc_u32 s1, s1, s7
	v_lshlrev_b32_e32 v0, 9, v0
	v_mov_b32_e32 v2, s1
	v_add_co_u32_e32 v1, vcc, s0, v0
	v_addc_co_u32_e32 v2, vcc, 0, v2, vcc
	s_or_b64 s[2:3], s[2:3], exec
.LBB50_6:
	s_and_saveexec_b64 s[0:1], s[2:3]
	s_cbranch_execnz .LBB50_8
; %bb.7:
	s_endpgm
.LBB50_8:
	s_load_dwordx8 s[8:15], s[4:5], 0x8
	s_load_dwordx8 s[16:23], s[4:5], 0x28
	;; [unrolled: 1-line block ×7, first 2 shown]
	s_waitcnt lgkmcnt(0)
	v_mov_b32_e32 v3, s28
	v_mov_b32_e32 v7, s24
	;; [unrolled: 1-line block ×8, first 2 shown]
	s_load_dwordx8 s[24:31], s[4:5], 0xa8
	flat_store_dwordx4 v[1:2], v[3:6] offset:240
	flat_store_dwordx4 v[1:2], v[7:10] offset:224
	v_mov_b32_e32 v3, s64
	v_mov_b32_e32 v4, s65
	;; [unrolled: 1-line block ×4, first 2 shown]
	flat_store_dwordx4 v[1:2], v[3:6] offset:208
	s_nop 0
	v_mov_b32_e32 v3, s60
	v_mov_b32_e32 v4, s61
	;; [unrolled: 1-line block ×4, first 2 shown]
	flat_store_dwordx4 v[1:2], v[3:6] offset:192
	s_waitcnt lgkmcnt(0)
	v_mov_b32_e32 v3, s28
	v_mov_b32_e32 v4, s29
	v_mov_b32_e32 v5, s30
	v_mov_b32_e32 v6, s31
	flat_store_dwordx4 v[1:2], v[3:6] offset:176
	s_nop 0
	v_mov_b32_e32 v3, s24
	v_mov_b32_e32 v4, s25
	v_mov_b32_e32 v5, s26
	v_mov_b32_e32 v6, s27
	flat_store_dwordx4 v[1:2], v[3:6] offset:160
	s_nop 0
	;; [unrolled: 6-line block ×11, first 2 shown]
	v_mov_b32_e32 v3, s8
	v_mov_b32_e32 v4, s9
	;; [unrolled: 1-line block ×4, first 2 shown]
	flat_store_dwordx4 v[1:2], v[3:6]
	s_load_dwordx8 s[8:15], s[4:5], 0x108
	s_load_dwordx8 s[16:23], s[4:5], 0x128
	;; [unrolled: 1-line block ×7, first 2 shown]
	s_waitcnt lgkmcnt(0)
	v_mov_b32_e32 v3, s28
	v_mov_b32_e32 v7, s24
	;; [unrolled: 1-line block ×8, first 2 shown]
	s_load_dwordx8 s[24:31], s[4:5], 0x1a8
	flat_store_dwordx4 v[1:2], v[3:6] offset:496
	flat_store_dwordx4 v[1:2], v[7:10] offset:480
	v_mov_b32_e32 v3, s64
	v_mov_b32_e32 v4, s65
	;; [unrolled: 1-line block ×4, first 2 shown]
	flat_store_dwordx4 v[1:2], v[3:6] offset:464
	s_nop 0
	v_mov_b32_e32 v3, s60
	v_mov_b32_e32 v4, s61
	;; [unrolled: 1-line block ×4, first 2 shown]
	flat_store_dwordx4 v[1:2], v[3:6] offset:448
	s_waitcnt lgkmcnt(0)
	v_mov_b32_e32 v3, s28
	v_mov_b32_e32 v4, s29
	v_mov_b32_e32 v5, s30
	v_mov_b32_e32 v6, s31
	flat_store_dwordx4 v[1:2], v[3:6] offset:432
	s_nop 0
	v_mov_b32_e32 v3, s24
	v_mov_b32_e32 v4, s25
	v_mov_b32_e32 v5, s26
	v_mov_b32_e32 v6, s27
	flat_store_dwordx4 v[1:2], v[3:6] offset:416
	s_nop 0
	v_mov_b32_e32 v3, s56
	v_mov_b32_e32 v4, s57
	v_mov_b32_e32 v5, s58
	v_mov_b32_e32 v6, s59
	flat_store_dwordx4 v[1:2], v[3:6] offset:400
	s_nop 0
	v_mov_b32_e32 v3, s52
	v_mov_b32_e32 v4, s53
	v_mov_b32_e32 v5, s54
	v_mov_b32_e32 v6, s55
	flat_store_dwordx4 v[1:2], v[3:6] offset:384
	s_nop 0
	v_mov_b32_e32 v3, s48
	v_mov_b32_e32 v4, s49
	v_mov_b32_e32 v5, s50
	v_mov_b32_e32 v6, s51
	flat_store_dwordx4 v[1:2], v[3:6] offset:368
	s_nop 0
	v_mov_b32_e32 v3, s44
	v_mov_b32_e32 v4, s45
	v_mov_b32_e32 v5, s46
	v_mov_b32_e32 v6, s47
	flat_store_dwordx4 v[1:2], v[3:6] offset:352
	s_nop 0
	v_mov_b32_e32 v3, s40
	v_mov_b32_e32 v4, s41
	v_mov_b32_e32 v5, s42
	v_mov_b32_e32 v6, s43
	flat_store_dwordx4 v[1:2], v[3:6] offset:336
	s_nop 0
	v_mov_b32_e32 v3, s36
	v_mov_b32_e32 v4, s37
	v_mov_b32_e32 v5, s38
	v_mov_b32_e32 v6, s39
	flat_store_dwordx4 v[1:2], v[3:6] offset:320
	s_nop 0
	v_mov_b32_e32 v3, s20
	v_mov_b32_e32 v4, s21
	v_mov_b32_e32 v5, s22
	v_mov_b32_e32 v6, s23
	flat_store_dwordx4 v[1:2], v[3:6] offset:304
	s_nop 0
	v_mov_b32_e32 v3, s16
	v_mov_b32_e32 v4, s17
	v_mov_b32_e32 v5, s18
	v_mov_b32_e32 v6, s19
	flat_store_dwordx4 v[1:2], v[3:6] offset:288
	s_nop 0
	v_mov_b32_e32 v3, s12
	v_mov_b32_e32 v4, s13
	v_mov_b32_e32 v5, s14
	v_mov_b32_e32 v6, s15
	flat_store_dwordx4 v[1:2], v[3:6] offset:272
	s_nop 0
	v_mov_b32_e32 v3, s8
	v_mov_b32_e32 v4, s9
	;; [unrolled: 1-line block ×4, first 2 shown]
	flat_store_dwordx4 v[1:2], v[3:6] offset:256
	s_endpgm
	.section	.rodata,"a",@progbits
	.p2align	6, 0x0
	.amdhsa_kernel _ZN6thrust23THRUST_200600_302600_NS11hip_rocprim14__parallel_for6kernelILj256ENS1_10for_each_fINS0_6detail15normal_iteratorINS0_10device_ptrI11FixedVectorIiLj128EEEEEENS5_16wrapped_functionI24SetFixedVectorToConstantIiLj128EEvEEEElLj1EEEvT0_T1_SI_
		.amdhsa_group_segment_fixed_size 0
		.amdhsa_private_segment_fixed_size 0
		.amdhsa_kernarg_size 536
		.amdhsa_user_sgpr_count 6
		.amdhsa_user_sgpr_private_segment_buffer 1
		.amdhsa_user_sgpr_dispatch_ptr 0
		.amdhsa_user_sgpr_queue_ptr 0
		.amdhsa_user_sgpr_kernarg_segment_ptr 1
		.amdhsa_user_sgpr_dispatch_id 0
		.amdhsa_user_sgpr_flat_scratch_init 0
		.amdhsa_user_sgpr_private_segment_size 0
		.amdhsa_uses_dynamic_stack 0
		.amdhsa_system_sgpr_private_segment_wavefront_offset 0
		.amdhsa_system_sgpr_workgroup_id_x 1
		.amdhsa_system_sgpr_workgroup_id_y 0
		.amdhsa_system_sgpr_workgroup_id_z 0
		.amdhsa_system_sgpr_workgroup_info 0
		.amdhsa_system_vgpr_workitem_id 0
		.amdhsa_next_free_vgpr 11
		.amdhsa_next_free_sgpr 68
		.amdhsa_reserve_vcc 1
		.amdhsa_reserve_flat_scratch 0
		.amdhsa_float_round_mode_32 0
		.amdhsa_float_round_mode_16_64 0
		.amdhsa_float_denorm_mode_32 3
		.amdhsa_float_denorm_mode_16_64 3
		.amdhsa_dx10_clamp 1
		.amdhsa_ieee_mode 1
		.amdhsa_fp16_overflow 0
		.amdhsa_exception_fp_ieee_invalid_op 0
		.amdhsa_exception_fp_denorm_src 0
		.amdhsa_exception_fp_ieee_div_zero 0
		.amdhsa_exception_fp_ieee_overflow 0
		.amdhsa_exception_fp_ieee_underflow 0
		.amdhsa_exception_fp_ieee_inexact 0
		.amdhsa_exception_int_div_zero 0
	.end_amdhsa_kernel
	.section	.text._ZN6thrust23THRUST_200600_302600_NS11hip_rocprim14__parallel_for6kernelILj256ENS1_10for_each_fINS0_6detail15normal_iteratorINS0_10device_ptrI11FixedVectorIiLj128EEEEEENS5_16wrapped_functionI24SetFixedVectorToConstantIiLj128EEvEEEElLj1EEEvT0_T1_SI_,"axG",@progbits,_ZN6thrust23THRUST_200600_302600_NS11hip_rocprim14__parallel_for6kernelILj256ENS1_10for_each_fINS0_6detail15normal_iteratorINS0_10device_ptrI11FixedVectorIiLj128EEEEEENS5_16wrapped_functionI24SetFixedVectorToConstantIiLj128EEvEEEElLj1EEEvT0_T1_SI_,comdat
.Lfunc_end50:
	.size	_ZN6thrust23THRUST_200600_302600_NS11hip_rocprim14__parallel_for6kernelILj256ENS1_10for_each_fINS0_6detail15normal_iteratorINS0_10device_ptrI11FixedVectorIiLj128EEEEEENS5_16wrapped_functionI24SetFixedVectorToConstantIiLj128EEvEEEElLj1EEEvT0_T1_SI_, .Lfunc_end50-_ZN6thrust23THRUST_200600_302600_NS11hip_rocprim14__parallel_for6kernelILj256ENS1_10for_each_fINS0_6detail15normal_iteratorINS0_10device_ptrI11FixedVectorIiLj128EEEEEENS5_16wrapped_functionI24SetFixedVectorToConstantIiLj128EEvEEEElLj1EEEvT0_T1_SI_
                                        ; -- End function
	.set _ZN6thrust23THRUST_200600_302600_NS11hip_rocprim14__parallel_for6kernelILj256ENS1_10for_each_fINS0_6detail15normal_iteratorINS0_10device_ptrI11FixedVectorIiLj128EEEEEENS5_16wrapped_functionI24SetFixedVectorToConstantIiLj128EEvEEEElLj1EEEvT0_T1_SI_.num_vgpr, 11
	.set _ZN6thrust23THRUST_200600_302600_NS11hip_rocprim14__parallel_for6kernelILj256ENS1_10for_each_fINS0_6detail15normal_iteratorINS0_10device_ptrI11FixedVectorIiLj128EEEEEENS5_16wrapped_functionI24SetFixedVectorToConstantIiLj128EEvEEEElLj1EEEvT0_T1_SI_.num_agpr, 0
	.set _ZN6thrust23THRUST_200600_302600_NS11hip_rocprim14__parallel_for6kernelILj256ENS1_10for_each_fINS0_6detail15normal_iteratorINS0_10device_ptrI11FixedVectorIiLj128EEEEEENS5_16wrapped_functionI24SetFixedVectorToConstantIiLj128EEvEEEElLj1EEEvT0_T1_SI_.numbered_sgpr, 68
	.set _ZN6thrust23THRUST_200600_302600_NS11hip_rocprim14__parallel_for6kernelILj256ENS1_10for_each_fINS0_6detail15normal_iteratorINS0_10device_ptrI11FixedVectorIiLj128EEEEEENS5_16wrapped_functionI24SetFixedVectorToConstantIiLj128EEvEEEElLj1EEEvT0_T1_SI_.num_named_barrier, 0
	.set _ZN6thrust23THRUST_200600_302600_NS11hip_rocprim14__parallel_for6kernelILj256ENS1_10for_each_fINS0_6detail15normal_iteratorINS0_10device_ptrI11FixedVectorIiLj128EEEEEENS5_16wrapped_functionI24SetFixedVectorToConstantIiLj128EEvEEEElLj1EEEvT0_T1_SI_.private_seg_size, 0
	.set _ZN6thrust23THRUST_200600_302600_NS11hip_rocprim14__parallel_for6kernelILj256ENS1_10for_each_fINS0_6detail15normal_iteratorINS0_10device_ptrI11FixedVectorIiLj128EEEEEENS5_16wrapped_functionI24SetFixedVectorToConstantIiLj128EEvEEEElLj1EEEvT0_T1_SI_.uses_vcc, 1
	.set _ZN6thrust23THRUST_200600_302600_NS11hip_rocprim14__parallel_for6kernelILj256ENS1_10for_each_fINS0_6detail15normal_iteratorINS0_10device_ptrI11FixedVectorIiLj128EEEEEENS5_16wrapped_functionI24SetFixedVectorToConstantIiLj128EEvEEEElLj1EEEvT0_T1_SI_.uses_flat_scratch, 0
	.set _ZN6thrust23THRUST_200600_302600_NS11hip_rocprim14__parallel_for6kernelILj256ENS1_10for_each_fINS0_6detail15normal_iteratorINS0_10device_ptrI11FixedVectorIiLj128EEEEEENS5_16wrapped_functionI24SetFixedVectorToConstantIiLj128EEvEEEElLj1EEEvT0_T1_SI_.has_dyn_sized_stack, 0
	.set _ZN6thrust23THRUST_200600_302600_NS11hip_rocprim14__parallel_for6kernelILj256ENS1_10for_each_fINS0_6detail15normal_iteratorINS0_10device_ptrI11FixedVectorIiLj128EEEEEENS5_16wrapped_functionI24SetFixedVectorToConstantIiLj128EEvEEEElLj1EEEvT0_T1_SI_.has_recursion, 0
	.set _ZN6thrust23THRUST_200600_302600_NS11hip_rocprim14__parallel_for6kernelILj256ENS1_10for_each_fINS0_6detail15normal_iteratorINS0_10device_ptrI11FixedVectorIiLj128EEEEEENS5_16wrapped_functionI24SetFixedVectorToConstantIiLj128EEvEEEElLj1EEEvT0_T1_SI_.has_indirect_call, 0
	.section	.AMDGPU.csdata,"",@progbits
; Kernel info:
; codeLenInByte = 1204
; TotalNumSgprs: 72
; NumVgprs: 11
; ScratchSize: 0
; MemoryBound: 0
; FloatMode: 240
; IeeeMode: 1
; LDSByteSize: 0 bytes/workgroup (compile time only)
; SGPRBlocks: 8
; VGPRBlocks: 2
; NumSGPRsForWavesPerEU: 72
; NumVGPRsForWavesPerEU: 11
; Occupancy: 10
; WaveLimiterHint : 1
; COMPUTE_PGM_RSRC2:SCRATCH_EN: 0
; COMPUTE_PGM_RSRC2:USER_SGPR: 6
; COMPUTE_PGM_RSRC2:TRAP_HANDLER: 0
; COMPUTE_PGM_RSRC2:TGID_X_EN: 1
; COMPUTE_PGM_RSRC2:TGID_Y_EN: 0
; COMPUTE_PGM_RSRC2:TGID_Z_EN: 0
; COMPUTE_PGM_RSRC2:TIDIG_COMP_CNT: 0
	.section	.text._ZN6thrust23THRUST_200600_302600_NS11hip_rocprim14__parallel_for6kernelILj256ENS1_10for_each_fINS0_10device_ptrI11FixedVectorIiLj256EEEENS0_6detail16wrapped_functionINS9_23allocator_traits_detail5gozerEvEEEElLj1EEEvT0_T1_SG_,"axG",@progbits,_ZN6thrust23THRUST_200600_302600_NS11hip_rocprim14__parallel_for6kernelILj256ENS1_10for_each_fINS0_10device_ptrI11FixedVectorIiLj256EEEENS0_6detail16wrapped_functionINS9_23allocator_traits_detail5gozerEvEEEElLj1EEEvT0_T1_SG_,comdat
	.protected	_ZN6thrust23THRUST_200600_302600_NS11hip_rocprim14__parallel_for6kernelILj256ENS1_10for_each_fINS0_10device_ptrI11FixedVectorIiLj256EEEENS0_6detail16wrapped_functionINS9_23allocator_traits_detail5gozerEvEEEElLj1EEEvT0_T1_SG_ ; -- Begin function _ZN6thrust23THRUST_200600_302600_NS11hip_rocprim14__parallel_for6kernelILj256ENS1_10for_each_fINS0_10device_ptrI11FixedVectorIiLj256EEEENS0_6detail16wrapped_functionINS9_23allocator_traits_detail5gozerEvEEEElLj1EEEvT0_T1_SG_
	.globl	_ZN6thrust23THRUST_200600_302600_NS11hip_rocprim14__parallel_for6kernelILj256ENS1_10for_each_fINS0_10device_ptrI11FixedVectorIiLj256EEEENS0_6detail16wrapped_functionINS9_23allocator_traits_detail5gozerEvEEEElLj1EEEvT0_T1_SG_
	.p2align	8
	.type	_ZN6thrust23THRUST_200600_302600_NS11hip_rocprim14__parallel_for6kernelILj256ENS1_10for_each_fINS0_10device_ptrI11FixedVectorIiLj256EEEENS0_6detail16wrapped_functionINS9_23allocator_traits_detail5gozerEvEEEElLj1EEEvT0_T1_SG_,@function
_ZN6thrust23THRUST_200600_302600_NS11hip_rocprim14__parallel_for6kernelILj256ENS1_10for_each_fINS0_10device_ptrI11FixedVectorIiLj256EEEENS0_6detail16wrapped_functionINS9_23allocator_traits_detail5gozerEvEEEElLj1EEEvT0_T1_SG_: ; @_ZN6thrust23THRUST_200600_302600_NS11hip_rocprim14__parallel_for6kernelILj256ENS1_10for_each_fINS0_10device_ptrI11FixedVectorIiLj256EEEENS0_6detail16wrapped_functionINS9_23allocator_traits_detail5gozerEvEEEElLj1EEEvT0_T1_SG_
; %bb.0:
	s_endpgm
	.section	.rodata,"a",@progbits
	.p2align	6, 0x0
	.amdhsa_kernel _ZN6thrust23THRUST_200600_302600_NS11hip_rocprim14__parallel_for6kernelILj256ENS1_10for_each_fINS0_10device_ptrI11FixedVectorIiLj256EEEENS0_6detail16wrapped_functionINS9_23allocator_traits_detail5gozerEvEEEElLj1EEEvT0_T1_SG_
		.amdhsa_group_segment_fixed_size 0
		.amdhsa_private_segment_fixed_size 0
		.amdhsa_kernarg_size 32
		.amdhsa_user_sgpr_count 6
		.amdhsa_user_sgpr_private_segment_buffer 1
		.amdhsa_user_sgpr_dispatch_ptr 0
		.amdhsa_user_sgpr_queue_ptr 0
		.amdhsa_user_sgpr_kernarg_segment_ptr 1
		.amdhsa_user_sgpr_dispatch_id 0
		.amdhsa_user_sgpr_flat_scratch_init 0
		.amdhsa_user_sgpr_private_segment_size 0
		.amdhsa_uses_dynamic_stack 0
		.amdhsa_system_sgpr_private_segment_wavefront_offset 0
		.amdhsa_system_sgpr_workgroup_id_x 1
		.amdhsa_system_sgpr_workgroup_id_y 0
		.amdhsa_system_sgpr_workgroup_id_z 0
		.amdhsa_system_sgpr_workgroup_info 0
		.amdhsa_system_vgpr_workitem_id 0
		.amdhsa_next_free_vgpr 1
		.amdhsa_next_free_sgpr 0
		.amdhsa_reserve_vcc 0
		.amdhsa_reserve_flat_scratch 0
		.amdhsa_float_round_mode_32 0
		.amdhsa_float_round_mode_16_64 0
		.amdhsa_float_denorm_mode_32 3
		.amdhsa_float_denorm_mode_16_64 3
		.amdhsa_dx10_clamp 1
		.amdhsa_ieee_mode 1
		.amdhsa_fp16_overflow 0
		.amdhsa_exception_fp_ieee_invalid_op 0
		.amdhsa_exception_fp_denorm_src 0
		.amdhsa_exception_fp_ieee_div_zero 0
		.amdhsa_exception_fp_ieee_overflow 0
		.amdhsa_exception_fp_ieee_underflow 0
		.amdhsa_exception_fp_ieee_inexact 0
		.amdhsa_exception_int_div_zero 0
	.end_amdhsa_kernel
	.section	.text._ZN6thrust23THRUST_200600_302600_NS11hip_rocprim14__parallel_for6kernelILj256ENS1_10for_each_fINS0_10device_ptrI11FixedVectorIiLj256EEEENS0_6detail16wrapped_functionINS9_23allocator_traits_detail5gozerEvEEEElLj1EEEvT0_T1_SG_,"axG",@progbits,_ZN6thrust23THRUST_200600_302600_NS11hip_rocprim14__parallel_for6kernelILj256ENS1_10for_each_fINS0_10device_ptrI11FixedVectorIiLj256EEEENS0_6detail16wrapped_functionINS9_23allocator_traits_detail5gozerEvEEEElLj1EEEvT0_T1_SG_,comdat
.Lfunc_end51:
	.size	_ZN6thrust23THRUST_200600_302600_NS11hip_rocprim14__parallel_for6kernelILj256ENS1_10for_each_fINS0_10device_ptrI11FixedVectorIiLj256EEEENS0_6detail16wrapped_functionINS9_23allocator_traits_detail5gozerEvEEEElLj1EEEvT0_T1_SG_, .Lfunc_end51-_ZN6thrust23THRUST_200600_302600_NS11hip_rocprim14__parallel_for6kernelILj256ENS1_10for_each_fINS0_10device_ptrI11FixedVectorIiLj256EEEENS0_6detail16wrapped_functionINS9_23allocator_traits_detail5gozerEvEEEElLj1EEEvT0_T1_SG_
                                        ; -- End function
	.set _ZN6thrust23THRUST_200600_302600_NS11hip_rocprim14__parallel_for6kernelILj256ENS1_10for_each_fINS0_10device_ptrI11FixedVectorIiLj256EEEENS0_6detail16wrapped_functionINS9_23allocator_traits_detail5gozerEvEEEElLj1EEEvT0_T1_SG_.num_vgpr, 0
	.set _ZN6thrust23THRUST_200600_302600_NS11hip_rocprim14__parallel_for6kernelILj256ENS1_10for_each_fINS0_10device_ptrI11FixedVectorIiLj256EEEENS0_6detail16wrapped_functionINS9_23allocator_traits_detail5gozerEvEEEElLj1EEEvT0_T1_SG_.num_agpr, 0
	.set _ZN6thrust23THRUST_200600_302600_NS11hip_rocprim14__parallel_for6kernelILj256ENS1_10for_each_fINS0_10device_ptrI11FixedVectorIiLj256EEEENS0_6detail16wrapped_functionINS9_23allocator_traits_detail5gozerEvEEEElLj1EEEvT0_T1_SG_.numbered_sgpr, 0
	.set _ZN6thrust23THRUST_200600_302600_NS11hip_rocprim14__parallel_for6kernelILj256ENS1_10for_each_fINS0_10device_ptrI11FixedVectorIiLj256EEEENS0_6detail16wrapped_functionINS9_23allocator_traits_detail5gozerEvEEEElLj1EEEvT0_T1_SG_.num_named_barrier, 0
	.set _ZN6thrust23THRUST_200600_302600_NS11hip_rocprim14__parallel_for6kernelILj256ENS1_10for_each_fINS0_10device_ptrI11FixedVectorIiLj256EEEENS0_6detail16wrapped_functionINS9_23allocator_traits_detail5gozerEvEEEElLj1EEEvT0_T1_SG_.private_seg_size, 0
	.set _ZN6thrust23THRUST_200600_302600_NS11hip_rocprim14__parallel_for6kernelILj256ENS1_10for_each_fINS0_10device_ptrI11FixedVectorIiLj256EEEENS0_6detail16wrapped_functionINS9_23allocator_traits_detail5gozerEvEEEElLj1EEEvT0_T1_SG_.uses_vcc, 0
	.set _ZN6thrust23THRUST_200600_302600_NS11hip_rocprim14__parallel_for6kernelILj256ENS1_10for_each_fINS0_10device_ptrI11FixedVectorIiLj256EEEENS0_6detail16wrapped_functionINS9_23allocator_traits_detail5gozerEvEEEElLj1EEEvT0_T1_SG_.uses_flat_scratch, 0
	.set _ZN6thrust23THRUST_200600_302600_NS11hip_rocprim14__parallel_for6kernelILj256ENS1_10for_each_fINS0_10device_ptrI11FixedVectorIiLj256EEEENS0_6detail16wrapped_functionINS9_23allocator_traits_detail5gozerEvEEEElLj1EEEvT0_T1_SG_.has_dyn_sized_stack, 0
	.set _ZN6thrust23THRUST_200600_302600_NS11hip_rocprim14__parallel_for6kernelILj256ENS1_10for_each_fINS0_10device_ptrI11FixedVectorIiLj256EEEENS0_6detail16wrapped_functionINS9_23allocator_traits_detail5gozerEvEEEElLj1EEEvT0_T1_SG_.has_recursion, 0
	.set _ZN6thrust23THRUST_200600_302600_NS11hip_rocprim14__parallel_for6kernelILj256ENS1_10for_each_fINS0_10device_ptrI11FixedVectorIiLj256EEEENS0_6detail16wrapped_functionINS9_23allocator_traits_detail5gozerEvEEEElLj1EEEvT0_T1_SG_.has_indirect_call, 0
	.section	.AMDGPU.csdata,"",@progbits
; Kernel info:
; codeLenInByte = 4
; TotalNumSgprs: 4
; NumVgprs: 0
; ScratchSize: 0
; MemoryBound: 0
; FloatMode: 240
; IeeeMode: 1
; LDSByteSize: 0 bytes/workgroup (compile time only)
; SGPRBlocks: 0
; VGPRBlocks: 0
; NumSGPRsForWavesPerEU: 4
; NumVGPRsForWavesPerEU: 1
; Occupancy: 10
; WaveLimiterHint : 0
; COMPUTE_PGM_RSRC2:SCRATCH_EN: 0
; COMPUTE_PGM_RSRC2:USER_SGPR: 6
; COMPUTE_PGM_RSRC2:TRAP_HANDLER: 0
; COMPUTE_PGM_RSRC2:TGID_X_EN: 1
; COMPUTE_PGM_RSRC2:TGID_Y_EN: 0
; COMPUTE_PGM_RSRC2:TGID_Z_EN: 0
; COMPUTE_PGM_RSRC2:TIDIG_COMP_CNT: 0
	.section	.text._ZN6thrust23THRUST_200600_302600_NS11hip_rocprim14__parallel_for6kernelILj256ENS1_10for_each_fINS0_6detail15normal_iteratorINS0_10device_ptrI11FixedVectorIiLj256EEEEEENS5_16wrapped_functionI24SetFixedVectorToConstantIiLj256EEvEEEElLj1EEEvT0_T1_SI_,"axG",@progbits,_ZN6thrust23THRUST_200600_302600_NS11hip_rocprim14__parallel_for6kernelILj256ENS1_10for_each_fINS0_6detail15normal_iteratorINS0_10device_ptrI11FixedVectorIiLj256EEEEEENS5_16wrapped_functionI24SetFixedVectorToConstantIiLj256EEvEEEElLj1EEEvT0_T1_SI_,comdat
	.protected	_ZN6thrust23THRUST_200600_302600_NS11hip_rocprim14__parallel_for6kernelILj256ENS1_10for_each_fINS0_6detail15normal_iteratorINS0_10device_ptrI11FixedVectorIiLj256EEEEEENS5_16wrapped_functionI24SetFixedVectorToConstantIiLj256EEvEEEElLj1EEEvT0_T1_SI_ ; -- Begin function _ZN6thrust23THRUST_200600_302600_NS11hip_rocprim14__parallel_for6kernelILj256ENS1_10for_each_fINS0_6detail15normal_iteratorINS0_10device_ptrI11FixedVectorIiLj256EEEEEENS5_16wrapped_functionI24SetFixedVectorToConstantIiLj256EEvEEEElLj1EEEvT0_T1_SI_
	.globl	_ZN6thrust23THRUST_200600_302600_NS11hip_rocprim14__parallel_for6kernelILj256ENS1_10for_each_fINS0_6detail15normal_iteratorINS0_10device_ptrI11FixedVectorIiLj256EEEEEENS5_16wrapped_functionI24SetFixedVectorToConstantIiLj256EEvEEEElLj1EEEvT0_T1_SI_
	.p2align	8
	.type	_ZN6thrust23THRUST_200600_302600_NS11hip_rocprim14__parallel_for6kernelILj256ENS1_10for_each_fINS0_6detail15normal_iteratorINS0_10device_ptrI11FixedVectorIiLj256EEEEEENS5_16wrapped_functionI24SetFixedVectorToConstantIiLj256EEvEEEElLj1EEEvT0_T1_SI_,@function
_ZN6thrust23THRUST_200600_302600_NS11hip_rocprim14__parallel_for6kernelILj256ENS1_10for_each_fINS0_6detail15normal_iteratorINS0_10device_ptrI11FixedVectorIiLj256EEEEEENS5_16wrapped_functionI24SetFixedVectorToConstantIiLj256EEvEEEElLj1EEEvT0_T1_SI_: ; @_ZN6thrust23THRUST_200600_302600_NS11hip_rocprim14__parallel_for6kernelILj256ENS1_10for_each_fINS0_6detail15normal_iteratorINS0_10device_ptrI11FixedVectorIiLj256EEEEEENS5_16wrapped_functionI24SetFixedVectorToConstantIiLj256EEvEEEElLj1EEEvT0_T1_SI_
; %bb.0:
	s_load_dwordx4 s[8:11], s[4:5], 0x408
	s_load_dwordx2 s[0:1], s[4:5], 0x0
	s_lshl_b32 s2, s6, 8
	v_mov_b32_e32 v1, 0x100
	v_mov_b32_e32 v2, 0
	s_waitcnt lgkmcnt(0)
	s_add_u32 s6, s10, s2
	s_addc_u32 s7, s11, 0
	s_sub_u32 s2, s8, s6
	s_subb_u32 s3, s9, s7
	v_cmp_lt_i64_e32 vcc, s[2:3], v[1:2]
	s_and_b64 s[8:9], vcc, exec
	s_cselect_b32 s2, s2, 0x100
	s_cmpk_eq_i32 s2, 0x100
	s_cbranch_scc1 .LBB52_4
; %bb.1:
	v_cmp_gt_u32_e32 vcc, s2, v0
	s_mov_b64 s[8:9], 0
	s_mov_b64 s[2:3], 0
                                        ; implicit-def: $vgpr1_vgpr2
	s_and_saveexec_b64 s[10:11], vcc
; %bb.2:
	s_lshl_b64 s[12:13], s[6:7], 10
	s_add_u32 s12, s0, s12
	s_addc_u32 s13, s1, s13
	v_lshlrev_b32_e32 v1, 10, v0
	v_mov_b32_e32 v2, s13
	v_add_co_u32_e32 v1, vcc, s12, v1
	s_mov_b64 s[2:3], exec
	v_addc_co_u32_e32 v2, vcc, 0, v2, vcc
; %bb.3:
	s_or_b64 exec, exec, s[10:11]
	s_and_b64 vcc, exec, s[8:9]
	s_cbranch_vccnz .LBB52_5
	s_branch .LBB52_6
.LBB52_4:
	s_mov_b64 s[2:3], 0
                                        ; implicit-def: $vgpr1_vgpr2
	s_cbranch_execz .LBB52_6
.LBB52_5:
	s_lshl_b64 s[6:7], s[6:7], 10
	s_add_u32 s0, s0, s6
	s_addc_u32 s1, s1, s7
	v_lshlrev_b32_e32 v0, 10, v0
	v_mov_b32_e32 v2, s1
	v_add_co_u32_e32 v1, vcc, s0, v0
	v_addc_co_u32_e32 v2, vcc, 0, v2, vcc
	s_or_b64 s[2:3], s[2:3], exec
.LBB52_6:
	s_and_saveexec_b64 s[0:1], s[2:3]
	s_cbranch_execnz .LBB52_8
; %bb.7:
	s_endpgm
.LBB52_8:
	s_load_dwordx8 s[8:15], s[4:5], 0x8
	s_load_dwordx8 s[16:23], s[4:5], 0x28
	;; [unrolled: 1-line block ×7, first 2 shown]
	s_waitcnt lgkmcnt(0)
	v_mov_b32_e32 v3, s28
	v_mov_b32_e32 v7, s24
	;; [unrolled: 1-line block ×8, first 2 shown]
	s_load_dwordx8 s[24:31], s[4:5], 0xa8
	flat_store_dwordx4 v[1:2], v[3:6] offset:240
	flat_store_dwordx4 v[1:2], v[7:10] offset:224
	v_mov_b32_e32 v3, s64
	v_mov_b32_e32 v4, s65
	;; [unrolled: 1-line block ×4, first 2 shown]
	flat_store_dwordx4 v[1:2], v[3:6] offset:208
	s_nop 0
	v_mov_b32_e32 v3, s60
	v_mov_b32_e32 v4, s61
	;; [unrolled: 1-line block ×4, first 2 shown]
	flat_store_dwordx4 v[1:2], v[3:6] offset:192
	s_waitcnt lgkmcnt(0)
	v_mov_b32_e32 v3, s28
	v_mov_b32_e32 v4, s29
	v_mov_b32_e32 v5, s30
	v_mov_b32_e32 v6, s31
	flat_store_dwordx4 v[1:2], v[3:6] offset:176
	s_nop 0
	v_mov_b32_e32 v3, s24
	v_mov_b32_e32 v4, s25
	v_mov_b32_e32 v5, s26
	v_mov_b32_e32 v6, s27
	flat_store_dwordx4 v[1:2], v[3:6] offset:160
	s_nop 0
	;; [unrolled: 6-line block ×11, first 2 shown]
	v_mov_b32_e32 v3, s8
	v_mov_b32_e32 v4, s9
	;; [unrolled: 1-line block ×4, first 2 shown]
	flat_store_dwordx4 v[1:2], v[3:6]
	s_load_dwordx8 s[8:15], s[4:5], 0x108
	s_load_dwordx8 s[16:23], s[4:5], 0x128
	;; [unrolled: 1-line block ×7, first 2 shown]
	s_waitcnt lgkmcnt(0)
	v_mov_b32_e32 v3, s28
	v_mov_b32_e32 v7, s24
	;; [unrolled: 1-line block ×8, first 2 shown]
	s_load_dwordx8 s[24:31], s[4:5], 0x1a8
	flat_store_dwordx4 v[1:2], v[3:6] offset:496
	flat_store_dwordx4 v[1:2], v[7:10] offset:480
	v_mov_b32_e32 v3, s64
	v_mov_b32_e32 v4, s65
	;; [unrolled: 1-line block ×4, first 2 shown]
	flat_store_dwordx4 v[1:2], v[3:6] offset:464
	s_nop 0
	v_mov_b32_e32 v3, s60
	v_mov_b32_e32 v4, s61
	;; [unrolled: 1-line block ×4, first 2 shown]
	flat_store_dwordx4 v[1:2], v[3:6] offset:448
	s_waitcnt lgkmcnt(0)
	v_mov_b32_e32 v3, s28
	v_mov_b32_e32 v4, s29
	v_mov_b32_e32 v5, s30
	v_mov_b32_e32 v6, s31
	flat_store_dwordx4 v[1:2], v[3:6] offset:432
	s_nop 0
	v_mov_b32_e32 v3, s24
	v_mov_b32_e32 v4, s25
	v_mov_b32_e32 v5, s26
	v_mov_b32_e32 v6, s27
	flat_store_dwordx4 v[1:2], v[3:6] offset:416
	s_nop 0
	;; [unrolled: 6-line block ×11, first 2 shown]
	v_mov_b32_e32 v3, s8
	v_mov_b32_e32 v4, s9
	;; [unrolled: 1-line block ×4, first 2 shown]
	flat_store_dwordx4 v[1:2], v[3:6] offset:256
	s_load_dwordx8 s[8:15], s[4:5], 0x208
	s_load_dwordx8 s[16:23], s[4:5], 0x228
	;; [unrolled: 1-line block ×7, first 2 shown]
	s_waitcnt lgkmcnt(0)
	v_mov_b32_e32 v3, s28
	v_mov_b32_e32 v7, s24
	v_mov_b32_e32 v4, s29
	v_mov_b32_e32 v5, s30
	v_mov_b32_e32 v6, s31
	v_mov_b32_e32 v8, s25
	v_mov_b32_e32 v9, s26
	v_mov_b32_e32 v10, s27
	s_load_dwordx8 s[24:31], s[4:5], 0x2a8
	flat_store_dwordx4 v[1:2], v[3:6] offset:752
	flat_store_dwordx4 v[1:2], v[7:10] offset:736
	v_mov_b32_e32 v3, s64
	v_mov_b32_e32 v4, s65
	;; [unrolled: 1-line block ×4, first 2 shown]
	flat_store_dwordx4 v[1:2], v[3:6] offset:720
	s_nop 0
	v_mov_b32_e32 v3, s60
	v_mov_b32_e32 v4, s61
	;; [unrolled: 1-line block ×4, first 2 shown]
	flat_store_dwordx4 v[1:2], v[3:6] offset:704
	s_waitcnt lgkmcnt(0)
	v_mov_b32_e32 v3, s28
	v_mov_b32_e32 v4, s29
	v_mov_b32_e32 v5, s30
	v_mov_b32_e32 v6, s31
	flat_store_dwordx4 v[1:2], v[3:6] offset:688
	s_nop 0
	v_mov_b32_e32 v3, s24
	v_mov_b32_e32 v4, s25
	v_mov_b32_e32 v5, s26
	v_mov_b32_e32 v6, s27
	flat_store_dwordx4 v[1:2], v[3:6] offset:672
	s_nop 0
	;; [unrolled: 6-line block ×11, first 2 shown]
	v_mov_b32_e32 v3, s8
	v_mov_b32_e32 v4, s9
	;; [unrolled: 1-line block ×4, first 2 shown]
	flat_store_dwordx4 v[1:2], v[3:6] offset:512
	s_load_dwordx8 s[8:15], s[4:5], 0x308
	s_load_dwordx8 s[16:23], s[4:5], 0x328
	;; [unrolled: 1-line block ×7, first 2 shown]
	s_waitcnt lgkmcnt(0)
	v_mov_b32_e32 v3, s28
	v_mov_b32_e32 v7, s24
	;; [unrolled: 1-line block ×8, first 2 shown]
	s_load_dwordx8 s[24:31], s[4:5], 0x3a8
	flat_store_dwordx4 v[1:2], v[3:6] offset:1008
	flat_store_dwordx4 v[1:2], v[7:10] offset:992
	v_mov_b32_e32 v3, s64
	v_mov_b32_e32 v4, s65
	;; [unrolled: 1-line block ×4, first 2 shown]
	flat_store_dwordx4 v[1:2], v[3:6] offset:976
	s_nop 0
	v_mov_b32_e32 v3, s60
	v_mov_b32_e32 v4, s61
	;; [unrolled: 1-line block ×4, first 2 shown]
	flat_store_dwordx4 v[1:2], v[3:6] offset:960
	s_waitcnt lgkmcnt(0)
	v_mov_b32_e32 v3, s28
	v_mov_b32_e32 v4, s29
	v_mov_b32_e32 v5, s30
	v_mov_b32_e32 v6, s31
	flat_store_dwordx4 v[1:2], v[3:6] offset:944
	s_nop 0
	v_mov_b32_e32 v3, s24
	v_mov_b32_e32 v4, s25
	v_mov_b32_e32 v5, s26
	v_mov_b32_e32 v6, s27
	flat_store_dwordx4 v[1:2], v[3:6] offset:928
	s_nop 0
	;; [unrolled: 6-line block ×11, first 2 shown]
	v_mov_b32_e32 v3, s8
	v_mov_b32_e32 v4, s9
	;; [unrolled: 1-line block ×4, first 2 shown]
	flat_store_dwordx4 v[1:2], v[3:6] offset:768
	s_endpgm
	.section	.rodata,"a",@progbits
	.p2align	6, 0x0
	.amdhsa_kernel _ZN6thrust23THRUST_200600_302600_NS11hip_rocprim14__parallel_for6kernelILj256ENS1_10for_each_fINS0_6detail15normal_iteratorINS0_10device_ptrI11FixedVectorIiLj256EEEEEENS5_16wrapped_functionI24SetFixedVectorToConstantIiLj256EEvEEEElLj1EEEvT0_T1_SI_
		.amdhsa_group_segment_fixed_size 0
		.amdhsa_private_segment_fixed_size 0
		.amdhsa_kernarg_size 1048
		.amdhsa_user_sgpr_count 6
		.amdhsa_user_sgpr_private_segment_buffer 1
		.amdhsa_user_sgpr_dispatch_ptr 0
		.amdhsa_user_sgpr_queue_ptr 0
		.amdhsa_user_sgpr_kernarg_segment_ptr 1
		.amdhsa_user_sgpr_dispatch_id 0
		.amdhsa_user_sgpr_flat_scratch_init 0
		.amdhsa_user_sgpr_private_segment_size 0
		.amdhsa_uses_dynamic_stack 0
		.amdhsa_system_sgpr_private_segment_wavefront_offset 0
		.amdhsa_system_sgpr_workgroup_id_x 1
		.amdhsa_system_sgpr_workgroup_id_y 0
		.amdhsa_system_sgpr_workgroup_id_z 0
		.amdhsa_system_sgpr_workgroup_info 0
		.amdhsa_system_vgpr_workitem_id 0
		.amdhsa_next_free_vgpr 11
		.amdhsa_next_free_sgpr 68
		.amdhsa_reserve_vcc 1
		.amdhsa_reserve_flat_scratch 0
		.amdhsa_float_round_mode_32 0
		.amdhsa_float_round_mode_16_64 0
		.amdhsa_float_denorm_mode_32 3
		.amdhsa_float_denorm_mode_16_64 3
		.amdhsa_dx10_clamp 1
		.amdhsa_ieee_mode 1
		.amdhsa_fp16_overflow 0
		.amdhsa_exception_fp_ieee_invalid_op 0
		.amdhsa_exception_fp_denorm_src 0
		.amdhsa_exception_fp_ieee_div_zero 0
		.amdhsa_exception_fp_ieee_overflow 0
		.amdhsa_exception_fp_ieee_underflow 0
		.amdhsa_exception_fp_ieee_inexact 0
		.amdhsa_exception_int_div_zero 0
	.end_amdhsa_kernel
	.section	.text._ZN6thrust23THRUST_200600_302600_NS11hip_rocprim14__parallel_for6kernelILj256ENS1_10for_each_fINS0_6detail15normal_iteratorINS0_10device_ptrI11FixedVectorIiLj256EEEEEENS5_16wrapped_functionI24SetFixedVectorToConstantIiLj256EEvEEEElLj1EEEvT0_T1_SI_,"axG",@progbits,_ZN6thrust23THRUST_200600_302600_NS11hip_rocprim14__parallel_for6kernelILj256ENS1_10for_each_fINS0_6detail15normal_iteratorINS0_10device_ptrI11FixedVectorIiLj256EEEEEENS5_16wrapped_functionI24SetFixedVectorToConstantIiLj256EEvEEEElLj1EEEvT0_T1_SI_,comdat
.Lfunc_end52:
	.size	_ZN6thrust23THRUST_200600_302600_NS11hip_rocprim14__parallel_for6kernelILj256ENS1_10for_each_fINS0_6detail15normal_iteratorINS0_10device_ptrI11FixedVectorIiLj256EEEEEENS5_16wrapped_functionI24SetFixedVectorToConstantIiLj256EEvEEEElLj1EEEvT0_T1_SI_, .Lfunc_end52-_ZN6thrust23THRUST_200600_302600_NS11hip_rocprim14__parallel_for6kernelILj256ENS1_10for_each_fINS0_6detail15normal_iteratorINS0_10device_ptrI11FixedVectorIiLj256EEEEEENS5_16wrapped_functionI24SetFixedVectorToConstantIiLj256EEvEEEElLj1EEEvT0_T1_SI_
                                        ; -- End function
	.set _ZN6thrust23THRUST_200600_302600_NS11hip_rocprim14__parallel_for6kernelILj256ENS1_10for_each_fINS0_6detail15normal_iteratorINS0_10device_ptrI11FixedVectorIiLj256EEEEEENS5_16wrapped_functionI24SetFixedVectorToConstantIiLj256EEvEEEElLj1EEEvT0_T1_SI_.num_vgpr, 11
	.set _ZN6thrust23THRUST_200600_302600_NS11hip_rocprim14__parallel_for6kernelILj256ENS1_10for_each_fINS0_6detail15normal_iteratorINS0_10device_ptrI11FixedVectorIiLj256EEEEEENS5_16wrapped_functionI24SetFixedVectorToConstantIiLj256EEvEEEElLj1EEEvT0_T1_SI_.num_agpr, 0
	.set _ZN6thrust23THRUST_200600_302600_NS11hip_rocprim14__parallel_for6kernelILj256ENS1_10for_each_fINS0_6detail15normal_iteratorINS0_10device_ptrI11FixedVectorIiLj256EEEEEENS5_16wrapped_functionI24SetFixedVectorToConstantIiLj256EEvEEEElLj1EEEvT0_T1_SI_.numbered_sgpr, 68
	.set _ZN6thrust23THRUST_200600_302600_NS11hip_rocprim14__parallel_for6kernelILj256ENS1_10for_each_fINS0_6detail15normal_iteratorINS0_10device_ptrI11FixedVectorIiLj256EEEEEENS5_16wrapped_functionI24SetFixedVectorToConstantIiLj256EEvEEEElLj1EEEvT0_T1_SI_.num_named_barrier, 0
	.set _ZN6thrust23THRUST_200600_302600_NS11hip_rocprim14__parallel_for6kernelILj256ENS1_10for_each_fINS0_6detail15normal_iteratorINS0_10device_ptrI11FixedVectorIiLj256EEEEEENS5_16wrapped_functionI24SetFixedVectorToConstantIiLj256EEvEEEElLj1EEEvT0_T1_SI_.private_seg_size, 0
	.set _ZN6thrust23THRUST_200600_302600_NS11hip_rocprim14__parallel_for6kernelILj256ENS1_10for_each_fINS0_6detail15normal_iteratorINS0_10device_ptrI11FixedVectorIiLj256EEEEEENS5_16wrapped_functionI24SetFixedVectorToConstantIiLj256EEvEEEElLj1EEEvT0_T1_SI_.uses_vcc, 1
	.set _ZN6thrust23THRUST_200600_302600_NS11hip_rocprim14__parallel_for6kernelILj256ENS1_10for_each_fINS0_6detail15normal_iteratorINS0_10device_ptrI11FixedVectorIiLj256EEEEEENS5_16wrapped_functionI24SetFixedVectorToConstantIiLj256EEvEEEElLj1EEEvT0_T1_SI_.uses_flat_scratch, 0
	.set _ZN6thrust23THRUST_200600_302600_NS11hip_rocprim14__parallel_for6kernelILj256ENS1_10for_each_fINS0_6detail15normal_iteratorINS0_10device_ptrI11FixedVectorIiLj256EEEEEENS5_16wrapped_functionI24SetFixedVectorToConstantIiLj256EEvEEEElLj1EEEvT0_T1_SI_.has_dyn_sized_stack, 0
	.set _ZN6thrust23THRUST_200600_302600_NS11hip_rocprim14__parallel_for6kernelILj256ENS1_10for_each_fINS0_6detail15normal_iteratorINS0_10device_ptrI11FixedVectorIiLj256EEEEEENS5_16wrapped_functionI24SetFixedVectorToConstantIiLj256EEvEEEElLj1EEEvT0_T1_SI_.has_recursion, 0
	.set _ZN6thrust23THRUST_200600_302600_NS11hip_rocprim14__parallel_for6kernelILj256ENS1_10for_each_fINS0_6detail15normal_iteratorINS0_10device_ptrI11FixedVectorIiLj256EEEEEENS5_16wrapped_functionI24SetFixedVectorToConstantIiLj256EEvEEEElLj1EEEvT0_T1_SI_.has_indirect_call, 0
	.section	.AMDGPU.csdata,"",@progbits
; Kernel info:
; codeLenInByte = 2212
; TotalNumSgprs: 72
; NumVgprs: 11
; ScratchSize: 0
; MemoryBound: 0
; FloatMode: 240
; IeeeMode: 1
; LDSByteSize: 0 bytes/workgroup (compile time only)
; SGPRBlocks: 8
; VGPRBlocks: 2
; NumSGPRsForWavesPerEU: 72
; NumVGPRsForWavesPerEU: 11
; Occupancy: 10
; WaveLimiterHint : 1
; COMPUTE_PGM_RSRC2:SCRATCH_EN: 0
; COMPUTE_PGM_RSRC2:USER_SGPR: 6
; COMPUTE_PGM_RSRC2:TRAP_HANDLER: 0
; COMPUTE_PGM_RSRC2:TGID_X_EN: 1
; COMPUTE_PGM_RSRC2:TGID_Y_EN: 0
; COMPUTE_PGM_RSRC2:TGID_Z_EN: 0
; COMPUTE_PGM_RSRC2:TIDIG_COMP_CNT: 0
	.section	.text._ZN6thrust23THRUST_200600_302600_NS11hip_rocprim14__parallel_for6kernelILj256ENS1_10for_each_fINS0_10device_ptrI11FixedVectorIiLj512EEEENS0_6detail16wrapped_functionINS9_23allocator_traits_detail5gozerEvEEEElLj1EEEvT0_T1_SG_,"axG",@progbits,_ZN6thrust23THRUST_200600_302600_NS11hip_rocprim14__parallel_for6kernelILj256ENS1_10for_each_fINS0_10device_ptrI11FixedVectorIiLj512EEEENS0_6detail16wrapped_functionINS9_23allocator_traits_detail5gozerEvEEEElLj1EEEvT0_T1_SG_,comdat
	.protected	_ZN6thrust23THRUST_200600_302600_NS11hip_rocprim14__parallel_for6kernelILj256ENS1_10for_each_fINS0_10device_ptrI11FixedVectorIiLj512EEEENS0_6detail16wrapped_functionINS9_23allocator_traits_detail5gozerEvEEEElLj1EEEvT0_T1_SG_ ; -- Begin function _ZN6thrust23THRUST_200600_302600_NS11hip_rocprim14__parallel_for6kernelILj256ENS1_10for_each_fINS0_10device_ptrI11FixedVectorIiLj512EEEENS0_6detail16wrapped_functionINS9_23allocator_traits_detail5gozerEvEEEElLj1EEEvT0_T1_SG_
	.globl	_ZN6thrust23THRUST_200600_302600_NS11hip_rocprim14__parallel_for6kernelILj256ENS1_10for_each_fINS0_10device_ptrI11FixedVectorIiLj512EEEENS0_6detail16wrapped_functionINS9_23allocator_traits_detail5gozerEvEEEElLj1EEEvT0_T1_SG_
	.p2align	8
	.type	_ZN6thrust23THRUST_200600_302600_NS11hip_rocprim14__parallel_for6kernelILj256ENS1_10for_each_fINS0_10device_ptrI11FixedVectorIiLj512EEEENS0_6detail16wrapped_functionINS9_23allocator_traits_detail5gozerEvEEEElLj1EEEvT0_T1_SG_,@function
_ZN6thrust23THRUST_200600_302600_NS11hip_rocprim14__parallel_for6kernelILj256ENS1_10for_each_fINS0_10device_ptrI11FixedVectorIiLj512EEEENS0_6detail16wrapped_functionINS9_23allocator_traits_detail5gozerEvEEEElLj1EEEvT0_T1_SG_: ; @_ZN6thrust23THRUST_200600_302600_NS11hip_rocprim14__parallel_for6kernelILj256ENS1_10for_each_fINS0_10device_ptrI11FixedVectorIiLj512EEEENS0_6detail16wrapped_functionINS9_23allocator_traits_detail5gozerEvEEEElLj1EEEvT0_T1_SG_
; %bb.0:
	s_endpgm
	.section	.rodata,"a",@progbits
	.p2align	6, 0x0
	.amdhsa_kernel _ZN6thrust23THRUST_200600_302600_NS11hip_rocprim14__parallel_for6kernelILj256ENS1_10for_each_fINS0_10device_ptrI11FixedVectorIiLj512EEEENS0_6detail16wrapped_functionINS9_23allocator_traits_detail5gozerEvEEEElLj1EEEvT0_T1_SG_
		.amdhsa_group_segment_fixed_size 0
		.amdhsa_private_segment_fixed_size 0
		.amdhsa_kernarg_size 32
		.amdhsa_user_sgpr_count 6
		.amdhsa_user_sgpr_private_segment_buffer 1
		.amdhsa_user_sgpr_dispatch_ptr 0
		.amdhsa_user_sgpr_queue_ptr 0
		.amdhsa_user_sgpr_kernarg_segment_ptr 1
		.amdhsa_user_sgpr_dispatch_id 0
		.amdhsa_user_sgpr_flat_scratch_init 0
		.amdhsa_user_sgpr_private_segment_size 0
		.amdhsa_uses_dynamic_stack 0
		.amdhsa_system_sgpr_private_segment_wavefront_offset 0
		.amdhsa_system_sgpr_workgroup_id_x 1
		.amdhsa_system_sgpr_workgroup_id_y 0
		.amdhsa_system_sgpr_workgroup_id_z 0
		.amdhsa_system_sgpr_workgroup_info 0
		.amdhsa_system_vgpr_workitem_id 0
		.amdhsa_next_free_vgpr 1
		.amdhsa_next_free_sgpr 0
		.amdhsa_reserve_vcc 0
		.amdhsa_reserve_flat_scratch 0
		.amdhsa_float_round_mode_32 0
		.amdhsa_float_round_mode_16_64 0
		.amdhsa_float_denorm_mode_32 3
		.amdhsa_float_denorm_mode_16_64 3
		.amdhsa_dx10_clamp 1
		.amdhsa_ieee_mode 1
		.amdhsa_fp16_overflow 0
		.amdhsa_exception_fp_ieee_invalid_op 0
		.amdhsa_exception_fp_denorm_src 0
		.amdhsa_exception_fp_ieee_div_zero 0
		.amdhsa_exception_fp_ieee_overflow 0
		.amdhsa_exception_fp_ieee_underflow 0
		.amdhsa_exception_fp_ieee_inexact 0
		.amdhsa_exception_int_div_zero 0
	.end_amdhsa_kernel
	.section	.text._ZN6thrust23THRUST_200600_302600_NS11hip_rocprim14__parallel_for6kernelILj256ENS1_10for_each_fINS0_10device_ptrI11FixedVectorIiLj512EEEENS0_6detail16wrapped_functionINS9_23allocator_traits_detail5gozerEvEEEElLj1EEEvT0_T1_SG_,"axG",@progbits,_ZN6thrust23THRUST_200600_302600_NS11hip_rocprim14__parallel_for6kernelILj256ENS1_10for_each_fINS0_10device_ptrI11FixedVectorIiLj512EEEENS0_6detail16wrapped_functionINS9_23allocator_traits_detail5gozerEvEEEElLj1EEEvT0_T1_SG_,comdat
.Lfunc_end53:
	.size	_ZN6thrust23THRUST_200600_302600_NS11hip_rocprim14__parallel_for6kernelILj256ENS1_10for_each_fINS0_10device_ptrI11FixedVectorIiLj512EEEENS0_6detail16wrapped_functionINS9_23allocator_traits_detail5gozerEvEEEElLj1EEEvT0_T1_SG_, .Lfunc_end53-_ZN6thrust23THRUST_200600_302600_NS11hip_rocprim14__parallel_for6kernelILj256ENS1_10for_each_fINS0_10device_ptrI11FixedVectorIiLj512EEEENS0_6detail16wrapped_functionINS9_23allocator_traits_detail5gozerEvEEEElLj1EEEvT0_T1_SG_
                                        ; -- End function
	.set _ZN6thrust23THRUST_200600_302600_NS11hip_rocprim14__parallel_for6kernelILj256ENS1_10for_each_fINS0_10device_ptrI11FixedVectorIiLj512EEEENS0_6detail16wrapped_functionINS9_23allocator_traits_detail5gozerEvEEEElLj1EEEvT0_T1_SG_.num_vgpr, 0
	.set _ZN6thrust23THRUST_200600_302600_NS11hip_rocprim14__parallel_for6kernelILj256ENS1_10for_each_fINS0_10device_ptrI11FixedVectorIiLj512EEEENS0_6detail16wrapped_functionINS9_23allocator_traits_detail5gozerEvEEEElLj1EEEvT0_T1_SG_.num_agpr, 0
	.set _ZN6thrust23THRUST_200600_302600_NS11hip_rocprim14__parallel_for6kernelILj256ENS1_10for_each_fINS0_10device_ptrI11FixedVectorIiLj512EEEENS0_6detail16wrapped_functionINS9_23allocator_traits_detail5gozerEvEEEElLj1EEEvT0_T1_SG_.numbered_sgpr, 0
	.set _ZN6thrust23THRUST_200600_302600_NS11hip_rocprim14__parallel_for6kernelILj256ENS1_10for_each_fINS0_10device_ptrI11FixedVectorIiLj512EEEENS0_6detail16wrapped_functionINS9_23allocator_traits_detail5gozerEvEEEElLj1EEEvT0_T1_SG_.num_named_barrier, 0
	.set _ZN6thrust23THRUST_200600_302600_NS11hip_rocprim14__parallel_for6kernelILj256ENS1_10for_each_fINS0_10device_ptrI11FixedVectorIiLj512EEEENS0_6detail16wrapped_functionINS9_23allocator_traits_detail5gozerEvEEEElLj1EEEvT0_T1_SG_.private_seg_size, 0
	.set _ZN6thrust23THRUST_200600_302600_NS11hip_rocprim14__parallel_for6kernelILj256ENS1_10for_each_fINS0_10device_ptrI11FixedVectorIiLj512EEEENS0_6detail16wrapped_functionINS9_23allocator_traits_detail5gozerEvEEEElLj1EEEvT0_T1_SG_.uses_vcc, 0
	.set _ZN6thrust23THRUST_200600_302600_NS11hip_rocprim14__parallel_for6kernelILj256ENS1_10for_each_fINS0_10device_ptrI11FixedVectorIiLj512EEEENS0_6detail16wrapped_functionINS9_23allocator_traits_detail5gozerEvEEEElLj1EEEvT0_T1_SG_.uses_flat_scratch, 0
	.set _ZN6thrust23THRUST_200600_302600_NS11hip_rocprim14__parallel_for6kernelILj256ENS1_10for_each_fINS0_10device_ptrI11FixedVectorIiLj512EEEENS0_6detail16wrapped_functionINS9_23allocator_traits_detail5gozerEvEEEElLj1EEEvT0_T1_SG_.has_dyn_sized_stack, 0
	.set _ZN6thrust23THRUST_200600_302600_NS11hip_rocprim14__parallel_for6kernelILj256ENS1_10for_each_fINS0_10device_ptrI11FixedVectorIiLj512EEEENS0_6detail16wrapped_functionINS9_23allocator_traits_detail5gozerEvEEEElLj1EEEvT0_T1_SG_.has_recursion, 0
	.set _ZN6thrust23THRUST_200600_302600_NS11hip_rocprim14__parallel_for6kernelILj256ENS1_10for_each_fINS0_10device_ptrI11FixedVectorIiLj512EEEENS0_6detail16wrapped_functionINS9_23allocator_traits_detail5gozerEvEEEElLj1EEEvT0_T1_SG_.has_indirect_call, 0
	.section	.AMDGPU.csdata,"",@progbits
; Kernel info:
; codeLenInByte = 4
; TotalNumSgprs: 4
; NumVgprs: 0
; ScratchSize: 0
; MemoryBound: 0
; FloatMode: 240
; IeeeMode: 1
; LDSByteSize: 0 bytes/workgroup (compile time only)
; SGPRBlocks: 0
; VGPRBlocks: 0
; NumSGPRsForWavesPerEU: 4
; NumVGPRsForWavesPerEU: 1
; Occupancy: 10
; WaveLimiterHint : 0
; COMPUTE_PGM_RSRC2:SCRATCH_EN: 0
; COMPUTE_PGM_RSRC2:USER_SGPR: 6
; COMPUTE_PGM_RSRC2:TRAP_HANDLER: 0
; COMPUTE_PGM_RSRC2:TGID_X_EN: 1
; COMPUTE_PGM_RSRC2:TGID_Y_EN: 0
; COMPUTE_PGM_RSRC2:TGID_Z_EN: 0
; COMPUTE_PGM_RSRC2:TIDIG_COMP_CNT: 0
	.section	.text._ZN6thrust23THRUST_200600_302600_NS11hip_rocprim14__parallel_for6kernelILj256ENS1_10for_each_fINS0_6detail15normal_iteratorINS0_10device_ptrI11FixedVectorIiLj512EEEEEENS5_16wrapped_functionI24SetFixedVectorToConstantIiLj512EEvEEEElLj1EEEvT0_T1_SI_,"axG",@progbits,_ZN6thrust23THRUST_200600_302600_NS11hip_rocprim14__parallel_for6kernelILj256ENS1_10for_each_fINS0_6detail15normal_iteratorINS0_10device_ptrI11FixedVectorIiLj512EEEEEENS5_16wrapped_functionI24SetFixedVectorToConstantIiLj512EEvEEEElLj1EEEvT0_T1_SI_,comdat
	.protected	_ZN6thrust23THRUST_200600_302600_NS11hip_rocprim14__parallel_for6kernelILj256ENS1_10for_each_fINS0_6detail15normal_iteratorINS0_10device_ptrI11FixedVectorIiLj512EEEEEENS5_16wrapped_functionI24SetFixedVectorToConstantIiLj512EEvEEEElLj1EEEvT0_T1_SI_ ; -- Begin function _ZN6thrust23THRUST_200600_302600_NS11hip_rocprim14__parallel_for6kernelILj256ENS1_10for_each_fINS0_6detail15normal_iteratorINS0_10device_ptrI11FixedVectorIiLj512EEEEEENS5_16wrapped_functionI24SetFixedVectorToConstantIiLj512EEvEEEElLj1EEEvT0_T1_SI_
	.globl	_ZN6thrust23THRUST_200600_302600_NS11hip_rocprim14__parallel_for6kernelILj256ENS1_10for_each_fINS0_6detail15normal_iteratorINS0_10device_ptrI11FixedVectorIiLj512EEEEEENS5_16wrapped_functionI24SetFixedVectorToConstantIiLj512EEvEEEElLj1EEEvT0_T1_SI_
	.p2align	8
	.type	_ZN6thrust23THRUST_200600_302600_NS11hip_rocprim14__parallel_for6kernelILj256ENS1_10for_each_fINS0_6detail15normal_iteratorINS0_10device_ptrI11FixedVectorIiLj512EEEEEENS5_16wrapped_functionI24SetFixedVectorToConstantIiLj512EEvEEEElLj1EEEvT0_T1_SI_,@function
_ZN6thrust23THRUST_200600_302600_NS11hip_rocprim14__parallel_for6kernelILj256ENS1_10for_each_fINS0_6detail15normal_iteratorINS0_10device_ptrI11FixedVectorIiLj512EEEEEENS5_16wrapped_functionI24SetFixedVectorToConstantIiLj512EEvEEEElLj1EEEvT0_T1_SI_: ; @_ZN6thrust23THRUST_200600_302600_NS11hip_rocprim14__parallel_for6kernelILj256ENS1_10for_each_fINS0_6detail15normal_iteratorINS0_10device_ptrI11FixedVectorIiLj512EEEEEENS5_16wrapped_functionI24SetFixedVectorToConstantIiLj512EEvEEEElLj1EEEvT0_T1_SI_
; %bb.0:
	s_load_dwordx4 s[8:11], s[4:5], 0x808
	s_load_dwordx2 s[0:1], s[4:5], 0x0
	s_lshl_b32 s2, s6, 8
	v_mov_b32_e32 v1, 0x100
	v_mov_b32_e32 v2, 0
	s_waitcnt lgkmcnt(0)
	s_add_u32 s6, s10, s2
	s_addc_u32 s7, s11, 0
	s_sub_u32 s2, s8, s6
	s_subb_u32 s3, s9, s7
	v_cmp_lt_i64_e32 vcc, s[2:3], v[1:2]
	s_and_b64 s[8:9], vcc, exec
	s_cselect_b32 s2, s2, 0x100
	s_cmpk_eq_i32 s2, 0x100
	s_cbranch_scc1 .LBB54_4
; %bb.1:
	v_cmp_gt_u32_e32 vcc, s2, v0
	s_mov_b64 s[8:9], 0
	s_mov_b64 s[2:3], 0
                                        ; implicit-def: $vgpr1_vgpr2
	s_and_saveexec_b64 s[10:11], vcc
; %bb.2:
	s_lshl_b64 s[12:13], s[6:7], 11
	s_add_u32 s12, s0, s12
	s_addc_u32 s13, s1, s13
	v_lshlrev_b32_e32 v1, 11, v0
	v_mov_b32_e32 v2, s13
	v_add_co_u32_e32 v1, vcc, s12, v1
	s_mov_b64 s[2:3], exec
	v_addc_co_u32_e32 v2, vcc, 0, v2, vcc
; %bb.3:
	s_or_b64 exec, exec, s[10:11]
	s_and_b64 vcc, exec, s[8:9]
	s_cbranch_vccnz .LBB54_5
	s_branch .LBB54_6
.LBB54_4:
	s_mov_b64 s[2:3], 0
                                        ; implicit-def: $vgpr1_vgpr2
	s_cbranch_execz .LBB54_6
.LBB54_5:
	s_lshl_b64 s[6:7], s[6:7], 11
	s_add_u32 s0, s0, s6
	s_addc_u32 s1, s1, s7
	v_lshlrev_b32_e32 v0, 11, v0
	v_mov_b32_e32 v2, s1
	v_add_co_u32_e32 v1, vcc, s0, v0
	v_addc_co_u32_e32 v2, vcc, 0, v2, vcc
	s_or_b64 s[2:3], s[2:3], exec
.LBB54_6:
	s_and_saveexec_b64 s[0:1], s[2:3]
	s_cbranch_execz .LBB54_9
; %bb.7:
	v_mov_b32_e32 v3, 0x800
	v_mov_b32_e32 v4, 0
	s_mov_b64 s[0:1], 0
.LBB54_8:                               ; =>This Inner Loop Header: Depth=1
	s_add_u32 s2, s4, s0
	s_addc_u32 s3, s5, s1
	s_load_dwordx16 s[52:67], s[2:3], 0xc8
	s_load_dwordx16 s[8:23], s[2:3], 0x8
	;; [unrolled: 1-line block ×3, first 2 shown]
	v_mov_b32_e32 v0, s1
	v_add_co_u32_e32 v21, vcc, s0, v1
	s_waitcnt lgkmcnt(0)
	v_mov_b32_e32 v5, s64
	v_mov_b32_e32 v6, s65
	;; [unrolled: 1-line block ×16, first 2 shown]
	s_load_dwordx16 s[52:67], s[2:3], 0x88
	v_addc_co_u32_e32 v22, vcc, v2, v0, vcc
	s_add_u32 s0, s0, 0x100
	flat_store_dwordx4 v[21:22], v[5:8] offset:240
	s_addc_u32 s1, s1, 0
	s_waitcnt lgkmcnt(0)
	v_mov_b32_e32 v5, s64
	v_mov_b32_e32 v6, s65
	;; [unrolled: 1-line block ×4, first 2 shown]
	v_cmp_lt_u64_e32 vcc, s[0:1], v[3:4]
	flat_store_dwordx4 v[21:22], v[9:12] offset:224
	flat_store_dwordx4 v[21:22], v[13:16] offset:208
	v_mov_b32_e32 v9, s60
	v_mov_b32_e32 v10, s61
	v_mov_b32_e32 v11, s62
	v_mov_b32_e32 v12, s63
	v_mov_b32_e32 v13, s56
	v_mov_b32_e32 v14, s57
	v_mov_b32_e32 v15, s58
	v_mov_b32_e32 v16, s59
	flat_store_dwordx4 v[21:22], v[5:8] offset:176
	flat_store_dwordx4 v[21:22], v[9:12] offset:160
	v_mov_b32_e32 v5, s52
	v_mov_b32_e32 v6, s53
	v_mov_b32_e32 v7, s54
	v_mov_b32_e32 v8, s55
	v_mov_b32_e32 v9, s48
	v_mov_b32_e32 v10, s49
	v_mov_b32_e32 v11, s50
	v_mov_b32_e32 v12, s51
	;; [unrolled: 10-line block ×3, first 2 shown]
	s_and_b64 vcc, exec, vcc
	flat_store_dwordx4 v[21:22], v[9:12] offset:112
	flat_store_dwordx4 v[21:22], v[13:16] offset:96
	v_mov_b32_e32 v9, s36
	v_mov_b32_e32 v10, s37
	v_mov_b32_e32 v11, s38
	v_mov_b32_e32 v12, s39
	v_mov_b32_e32 v13, s20
	v_mov_b32_e32 v14, s21
	v_mov_b32_e32 v15, s22
	v_mov_b32_e32 v16, s23
	flat_store_dwordx4 v[21:22], v[5:8] offset:80
	flat_store_dwordx4 v[21:22], v[17:20] offset:192
	v_mov_b32_e32 v5, s16
	v_mov_b32_e32 v6, s17
	;; [unrolled: 1-line block ×4, first 2 shown]
	flat_store_dwordx4 v[21:22], v[9:12] offset:64
	flat_store_dwordx4 v[21:22], v[13:16] offset:48
	v_mov_b32_e32 v9, s12
	v_mov_b32_e32 v10, s13
	;; [unrolled: 1-line block ×8, first 2 shown]
	flat_store_dwordx4 v[21:22], v[5:8] offset:32
	flat_store_dwordx4 v[21:22], v[9:12] offset:16
	flat_store_dwordx4 v[21:22], v[13:16]
	s_cbranch_vccnz .LBB54_8
.LBB54_9:
	s_endpgm
	.section	.rodata,"a",@progbits
	.p2align	6, 0x0
	.amdhsa_kernel _ZN6thrust23THRUST_200600_302600_NS11hip_rocprim14__parallel_for6kernelILj256ENS1_10for_each_fINS0_6detail15normal_iteratorINS0_10device_ptrI11FixedVectorIiLj512EEEEEENS5_16wrapped_functionI24SetFixedVectorToConstantIiLj512EEvEEEElLj1EEEvT0_T1_SI_
		.amdhsa_group_segment_fixed_size 0
		.amdhsa_private_segment_fixed_size 0
		.amdhsa_kernarg_size 2072
		.amdhsa_user_sgpr_count 6
		.amdhsa_user_sgpr_private_segment_buffer 1
		.amdhsa_user_sgpr_dispatch_ptr 0
		.amdhsa_user_sgpr_queue_ptr 0
		.amdhsa_user_sgpr_kernarg_segment_ptr 1
		.amdhsa_user_sgpr_dispatch_id 0
		.amdhsa_user_sgpr_flat_scratch_init 0
		.amdhsa_user_sgpr_private_segment_size 0
		.amdhsa_uses_dynamic_stack 0
		.amdhsa_system_sgpr_private_segment_wavefront_offset 0
		.amdhsa_system_sgpr_workgroup_id_x 1
		.amdhsa_system_sgpr_workgroup_id_y 0
		.amdhsa_system_sgpr_workgroup_id_z 0
		.amdhsa_system_sgpr_workgroup_info 0
		.amdhsa_system_vgpr_workitem_id 0
		.amdhsa_next_free_vgpr 23
		.amdhsa_next_free_sgpr 68
		.amdhsa_reserve_vcc 1
		.amdhsa_reserve_flat_scratch 0
		.amdhsa_float_round_mode_32 0
		.amdhsa_float_round_mode_16_64 0
		.amdhsa_float_denorm_mode_32 3
		.amdhsa_float_denorm_mode_16_64 3
		.amdhsa_dx10_clamp 1
		.amdhsa_ieee_mode 1
		.amdhsa_fp16_overflow 0
		.amdhsa_exception_fp_ieee_invalid_op 0
		.amdhsa_exception_fp_denorm_src 0
		.amdhsa_exception_fp_ieee_div_zero 0
		.amdhsa_exception_fp_ieee_overflow 0
		.amdhsa_exception_fp_ieee_underflow 0
		.amdhsa_exception_fp_ieee_inexact 0
		.amdhsa_exception_int_div_zero 0
	.end_amdhsa_kernel
	.section	.text._ZN6thrust23THRUST_200600_302600_NS11hip_rocprim14__parallel_for6kernelILj256ENS1_10for_each_fINS0_6detail15normal_iteratorINS0_10device_ptrI11FixedVectorIiLj512EEEEEENS5_16wrapped_functionI24SetFixedVectorToConstantIiLj512EEvEEEElLj1EEEvT0_T1_SI_,"axG",@progbits,_ZN6thrust23THRUST_200600_302600_NS11hip_rocprim14__parallel_for6kernelILj256ENS1_10for_each_fINS0_6detail15normal_iteratorINS0_10device_ptrI11FixedVectorIiLj512EEEEEENS5_16wrapped_functionI24SetFixedVectorToConstantIiLj512EEvEEEElLj1EEEvT0_T1_SI_,comdat
.Lfunc_end54:
	.size	_ZN6thrust23THRUST_200600_302600_NS11hip_rocprim14__parallel_for6kernelILj256ENS1_10for_each_fINS0_6detail15normal_iteratorINS0_10device_ptrI11FixedVectorIiLj512EEEEEENS5_16wrapped_functionI24SetFixedVectorToConstantIiLj512EEvEEEElLj1EEEvT0_T1_SI_, .Lfunc_end54-_ZN6thrust23THRUST_200600_302600_NS11hip_rocprim14__parallel_for6kernelILj256ENS1_10for_each_fINS0_6detail15normal_iteratorINS0_10device_ptrI11FixedVectorIiLj512EEEEEENS5_16wrapped_functionI24SetFixedVectorToConstantIiLj512EEvEEEElLj1EEEvT0_T1_SI_
                                        ; -- End function
	.set _ZN6thrust23THRUST_200600_302600_NS11hip_rocprim14__parallel_for6kernelILj256ENS1_10for_each_fINS0_6detail15normal_iteratorINS0_10device_ptrI11FixedVectorIiLj512EEEEEENS5_16wrapped_functionI24SetFixedVectorToConstantIiLj512EEvEEEElLj1EEEvT0_T1_SI_.num_vgpr, 23
	.set _ZN6thrust23THRUST_200600_302600_NS11hip_rocprim14__parallel_for6kernelILj256ENS1_10for_each_fINS0_6detail15normal_iteratorINS0_10device_ptrI11FixedVectorIiLj512EEEEEENS5_16wrapped_functionI24SetFixedVectorToConstantIiLj512EEvEEEElLj1EEEvT0_T1_SI_.num_agpr, 0
	.set _ZN6thrust23THRUST_200600_302600_NS11hip_rocprim14__parallel_for6kernelILj256ENS1_10for_each_fINS0_6detail15normal_iteratorINS0_10device_ptrI11FixedVectorIiLj512EEEEEENS5_16wrapped_functionI24SetFixedVectorToConstantIiLj512EEvEEEElLj1EEEvT0_T1_SI_.numbered_sgpr, 68
	.set _ZN6thrust23THRUST_200600_302600_NS11hip_rocprim14__parallel_for6kernelILj256ENS1_10for_each_fINS0_6detail15normal_iteratorINS0_10device_ptrI11FixedVectorIiLj512EEEEEENS5_16wrapped_functionI24SetFixedVectorToConstantIiLj512EEvEEEElLj1EEEvT0_T1_SI_.num_named_barrier, 0
	.set _ZN6thrust23THRUST_200600_302600_NS11hip_rocprim14__parallel_for6kernelILj256ENS1_10for_each_fINS0_6detail15normal_iteratorINS0_10device_ptrI11FixedVectorIiLj512EEEEEENS5_16wrapped_functionI24SetFixedVectorToConstantIiLj512EEvEEEElLj1EEEvT0_T1_SI_.private_seg_size, 0
	.set _ZN6thrust23THRUST_200600_302600_NS11hip_rocprim14__parallel_for6kernelILj256ENS1_10for_each_fINS0_6detail15normal_iteratorINS0_10device_ptrI11FixedVectorIiLj512EEEEEENS5_16wrapped_functionI24SetFixedVectorToConstantIiLj512EEvEEEElLj1EEEvT0_T1_SI_.uses_vcc, 1
	.set _ZN6thrust23THRUST_200600_302600_NS11hip_rocprim14__parallel_for6kernelILj256ENS1_10for_each_fINS0_6detail15normal_iteratorINS0_10device_ptrI11FixedVectorIiLj512EEEEEENS5_16wrapped_functionI24SetFixedVectorToConstantIiLj512EEvEEEElLj1EEEvT0_T1_SI_.uses_flat_scratch, 0
	.set _ZN6thrust23THRUST_200600_302600_NS11hip_rocprim14__parallel_for6kernelILj256ENS1_10for_each_fINS0_6detail15normal_iteratorINS0_10device_ptrI11FixedVectorIiLj512EEEEEENS5_16wrapped_functionI24SetFixedVectorToConstantIiLj512EEvEEEElLj1EEEvT0_T1_SI_.has_dyn_sized_stack, 0
	.set _ZN6thrust23THRUST_200600_302600_NS11hip_rocprim14__parallel_for6kernelILj256ENS1_10for_each_fINS0_6detail15normal_iteratorINS0_10device_ptrI11FixedVectorIiLj512EEEEEENS5_16wrapped_functionI24SetFixedVectorToConstantIiLj512EEvEEEElLj1EEEvT0_T1_SI_.has_recursion, 0
	.set _ZN6thrust23THRUST_200600_302600_NS11hip_rocprim14__parallel_for6kernelILj256ENS1_10for_each_fINS0_6detail15normal_iteratorINS0_10device_ptrI11FixedVectorIiLj512EEEEEENS5_16wrapped_functionI24SetFixedVectorToConstantIiLj512EEvEEEElLj1EEEvT0_T1_SI_.has_indirect_call, 0
	.section	.AMDGPU.csdata,"",@progbits
; Kernel info:
; codeLenInByte = 676
; TotalNumSgprs: 72
; NumVgprs: 23
; ScratchSize: 0
; MemoryBound: 1
; FloatMode: 240
; IeeeMode: 1
; LDSByteSize: 0 bytes/workgroup (compile time only)
; SGPRBlocks: 8
; VGPRBlocks: 5
; NumSGPRsForWavesPerEU: 72
; NumVGPRsForWavesPerEU: 23
; Occupancy: 10
; WaveLimiterHint : 1
; COMPUTE_PGM_RSRC2:SCRATCH_EN: 0
; COMPUTE_PGM_RSRC2:USER_SGPR: 6
; COMPUTE_PGM_RSRC2:TRAP_HANDLER: 0
; COMPUTE_PGM_RSRC2:TGID_X_EN: 1
; COMPUTE_PGM_RSRC2:TGID_Y_EN: 0
; COMPUTE_PGM_RSRC2:TGID_Z_EN: 0
; COMPUTE_PGM_RSRC2:TIDIG_COMP_CNT: 0
	.section	.text._ZN6thrust23THRUST_200600_302600_NS11hip_rocprim14__parallel_for6kernelILj256ENS1_10for_each_fINS0_10device_ptrI11FixedVectorIiLj1024EEEENS0_6detail16wrapped_functionINS9_23allocator_traits_detail5gozerEvEEEElLj1EEEvT0_T1_SG_,"axG",@progbits,_ZN6thrust23THRUST_200600_302600_NS11hip_rocprim14__parallel_for6kernelILj256ENS1_10for_each_fINS0_10device_ptrI11FixedVectorIiLj1024EEEENS0_6detail16wrapped_functionINS9_23allocator_traits_detail5gozerEvEEEElLj1EEEvT0_T1_SG_,comdat
	.protected	_ZN6thrust23THRUST_200600_302600_NS11hip_rocprim14__parallel_for6kernelILj256ENS1_10for_each_fINS0_10device_ptrI11FixedVectorIiLj1024EEEENS0_6detail16wrapped_functionINS9_23allocator_traits_detail5gozerEvEEEElLj1EEEvT0_T1_SG_ ; -- Begin function _ZN6thrust23THRUST_200600_302600_NS11hip_rocprim14__parallel_for6kernelILj256ENS1_10for_each_fINS0_10device_ptrI11FixedVectorIiLj1024EEEENS0_6detail16wrapped_functionINS9_23allocator_traits_detail5gozerEvEEEElLj1EEEvT0_T1_SG_
	.globl	_ZN6thrust23THRUST_200600_302600_NS11hip_rocprim14__parallel_for6kernelILj256ENS1_10for_each_fINS0_10device_ptrI11FixedVectorIiLj1024EEEENS0_6detail16wrapped_functionINS9_23allocator_traits_detail5gozerEvEEEElLj1EEEvT0_T1_SG_
	.p2align	8
	.type	_ZN6thrust23THRUST_200600_302600_NS11hip_rocprim14__parallel_for6kernelILj256ENS1_10for_each_fINS0_10device_ptrI11FixedVectorIiLj1024EEEENS0_6detail16wrapped_functionINS9_23allocator_traits_detail5gozerEvEEEElLj1EEEvT0_T1_SG_,@function
_ZN6thrust23THRUST_200600_302600_NS11hip_rocprim14__parallel_for6kernelILj256ENS1_10for_each_fINS0_10device_ptrI11FixedVectorIiLj1024EEEENS0_6detail16wrapped_functionINS9_23allocator_traits_detail5gozerEvEEEElLj1EEEvT0_T1_SG_: ; @_ZN6thrust23THRUST_200600_302600_NS11hip_rocprim14__parallel_for6kernelILj256ENS1_10for_each_fINS0_10device_ptrI11FixedVectorIiLj1024EEEENS0_6detail16wrapped_functionINS9_23allocator_traits_detail5gozerEvEEEElLj1EEEvT0_T1_SG_
; %bb.0:
	s_endpgm
	.section	.rodata,"a",@progbits
	.p2align	6, 0x0
	.amdhsa_kernel _ZN6thrust23THRUST_200600_302600_NS11hip_rocprim14__parallel_for6kernelILj256ENS1_10for_each_fINS0_10device_ptrI11FixedVectorIiLj1024EEEENS0_6detail16wrapped_functionINS9_23allocator_traits_detail5gozerEvEEEElLj1EEEvT0_T1_SG_
		.amdhsa_group_segment_fixed_size 0
		.amdhsa_private_segment_fixed_size 0
		.amdhsa_kernarg_size 32
		.amdhsa_user_sgpr_count 6
		.amdhsa_user_sgpr_private_segment_buffer 1
		.amdhsa_user_sgpr_dispatch_ptr 0
		.amdhsa_user_sgpr_queue_ptr 0
		.amdhsa_user_sgpr_kernarg_segment_ptr 1
		.amdhsa_user_sgpr_dispatch_id 0
		.amdhsa_user_sgpr_flat_scratch_init 0
		.amdhsa_user_sgpr_private_segment_size 0
		.amdhsa_uses_dynamic_stack 0
		.amdhsa_system_sgpr_private_segment_wavefront_offset 0
		.amdhsa_system_sgpr_workgroup_id_x 1
		.amdhsa_system_sgpr_workgroup_id_y 0
		.amdhsa_system_sgpr_workgroup_id_z 0
		.amdhsa_system_sgpr_workgroup_info 0
		.amdhsa_system_vgpr_workitem_id 0
		.amdhsa_next_free_vgpr 1
		.amdhsa_next_free_sgpr 0
		.amdhsa_reserve_vcc 0
		.amdhsa_reserve_flat_scratch 0
		.amdhsa_float_round_mode_32 0
		.amdhsa_float_round_mode_16_64 0
		.amdhsa_float_denorm_mode_32 3
		.amdhsa_float_denorm_mode_16_64 3
		.amdhsa_dx10_clamp 1
		.amdhsa_ieee_mode 1
		.amdhsa_fp16_overflow 0
		.amdhsa_exception_fp_ieee_invalid_op 0
		.amdhsa_exception_fp_denorm_src 0
		.amdhsa_exception_fp_ieee_div_zero 0
		.amdhsa_exception_fp_ieee_overflow 0
		.amdhsa_exception_fp_ieee_underflow 0
		.amdhsa_exception_fp_ieee_inexact 0
		.amdhsa_exception_int_div_zero 0
	.end_amdhsa_kernel
	.section	.text._ZN6thrust23THRUST_200600_302600_NS11hip_rocprim14__parallel_for6kernelILj256ENS1_10for_each_fINS0_10device_ptrI11FixedVectorIiLj1024EEEENS0_6detail16wrapped_functionINS9_23allocator_traits_detail5gozerEvEEEElLj1EEEvT0_T1_SG_,"axG",@progbits,_ZN6thrust23THRUST_200600_302600_NS11hip_rocprim14__parallel_for6kernelILj256ENS1_10for_each_fINS0_10device_ptrI11FixedVectorIiLj1024EEEENS0_6detail16wrapped_functionINS9_23allocator_traits_detail5gozerEvEEEElLj1EEEvT0_T1_SG_,comdat
.Lfunc_end55:
	.size	_ZN6thrust23THRUST_200600_302600_NS11hip_rocprim14__parallel_for6kernelILj256ENS1_10for_each_fINS0_10device_ptrI11FixedVectorIiLj1024EEEENS0_6detail16wrapped_functionINS9_23allocator_traits_detail5gozerEvEEEElLj1EEEvT0_T1_SG_, .Lfunc_end55-_ZN6thrust23THRUST_200600_302600_NS11hip_rocprim14__parallel_for6kernelILj256ENS1_10for_each_fINS0_10device_ptrI11FixedVectorIiLj1024EEEENS0_6detail16wrapped_functionINS9_23allocator_traits_detail5gozerEvEEEElLj1EEEvT0_T1_SG_
                                        ; -- End function
	.set _ZN6thrust23THRUST_200600_302600_NS11hip_rocprim14__parallel_for6kernelILj256ENS1_10for_each_fINS0_10device_ptrI11FixedVectorIiLj1024EEEENS0_6detail16wrapped_functionINS9_23allocator_traits_detail5gozerEvEEEElLj1EEEvT0_T1_SG_.num_vgpr, 0
	.set _ZN6thrust23THRUST_200600_302600_NS11hip_rocprim14__parallel_for6kernelILj256ENS1_10for_each_fINS0_10device_ptrI11FixedVectorIiLj1024EEEENS0_6detail16wrapped_functionINS9_23allocator_traits_detail5gozerEvEEEElLj1EEEvT0_T1_SG_.num_agpr, 0
	.set _ZN6thrust23THRUST_200600_302600_NS11hip_rocprim14__parallel_for6kernelILj256ENS1_10for_each_fINS0_10device_ptrI11FixedVectorIiLj1024EEEENS0_6detail16wrapped_functionINS9_23allocator_traits_detail5gozerEvEEEElLj1EEEvT0_T1_SG_.numbered_sgpr, 0
	.set _ZN6thrust23THRUST_200600_302600_NS11hip_rocprim14__parallel_for6kernelILj256ENS1_10for_each_fINS0_10device_ptrI11FixedVectorIiLj1024EEEENS0_6detail16wrapped_functionINS9_23allocator_traits_detail5gozerEvEEEElLj1EEEvT0_T1_SG_.num_named_barrier, 0
	.set _ZN6thrust23THRUST_200600_302600_NS11hip_rocprim14__parallel_for6kernelILj256ENS1_10for_each_fINS0_10device_ptrI11FixedVectorIiLj1024EEEENS0_6detail16wrapped_functionINS9_23allocator_traits_detail5gozerEvEEEElLj1EEEvT0_T1_SG_.private_seg_size, 0
	.set _ZN6thrust23THRUST_200600_302600_NS11hip_rocprim14__parallel_for6kernelILj256ENS1_10for_each_fINS0_10device_ptrI11FixedVectorIiLj1024EEEENS0_6detail16wrapped_functionINS9_23allocator_traits_detail5gozerEvEEEElLj1EEEvT0_T1_SG_.uses_vcc, 0
	.set _ZN6thrust23THRUST_200600_302600_NS11hip_rocprim14__parallel_for6kernelILj256ENS1_10for_each_fINS0_10device_ptrI11FixedVectorIiLj1024EEEENS0_6detail16wrapped_functionINS9_23allocator_traits_detail5gozerEvEEEElLj1EEEvT0_T1_SG_.uses_flat_scratch, 0
	.set _ZN6thrust23THRUST_200600_302600_NS11hip_rocprim14__parallel_for6kernelILj256ENS1_10for_each_fINS0_10device_ptrI11FixedVectorIiLj1024EEEENS0_6detail16wrapped_functionINS9_23allocator_traits_detail5gozerEvEEEElLj1EEEvT0_T1_SG_.has_dyn_sized_stack, 0
	.set _ZN6thrust23THRUST_200600_302600_NS11hip_rocprim14__parallel_for6kernelILj256ENS1_10for_each_fINS0_10device_ptrI11FixedVectorIiLj1024EEEENS0_6detail16wrapped_functionINS9_23allocator_traits_detail5gozerEvEEEElLj1EEEvT0_T1_SG_.has_recursion, 0
	.set _ZN6thrust23THRUST_200600_302600_NS11hip_rocprim14__parallel_for6kernelILj256ENS1_10for_each_fINS0_10device_ptrI11FixedVectorIiLj1024EEEENS0_6detail16wrapped_functionINS9_23allocator_traits_detail5gozerEvEEEElLj1EEEvT0_T1_SG_.has_indirect_call, 0
	.section	.AMDGPU.csdata,"",@progbits
; Kernel info:
; codeLenInByte = 4
; TotalNumSgprs: 4
; NumVgprs: 0
; ScratchSize: 0
; MemoryBound: 0
; FloatMode: 240
; IeeeMode: 1
; LDSByteSize: 0 bytes/workgroup (compile time only)
; SGPRBlocks: 0
; VGPRBlocks: 0
; NumSGPRsForWavesPerEU: 4
; NumVGPRsForWavesPerEU: 1
; Occupancy: 10
; WaveLimiterHint : 0
; COMPUTE_PGM_RSRC2:SCRATCH_EN: 0
; COMPUTE_PGM_RSRC2:USER_SGPR: 6
; COMPUTE_PGM_RSRC2:TRAP_HANDLER: 0
; COMPUTE_PGM_RSRC2:TGID_X_EN: 1
; COMPUTE_PGM_RSRC2:TGID_Y_EN: 0
; COMPUTE_PGM_RSRC2:TGID_Z_EN: 0
; COMPUTE_PGM_RSRC2:TIDIG_COMP_CNT: 0
	.section	.text._ZN6thrust23THRUST_200600_302600_NS11hip_rocprim14__parallel_for6kernelILj256ENS1_10for_each_fINS0_6detail15normal_iteratorINS0_10device_ptrI11FixedVectorIiLj1024EEEEEENS5_16wrapped_functionI24SetFixedVectorToConstantIiLj1024EEvEEEElLj1EEEvT0_T1_SI_,"axG",@progbits,_ZN6thrust23THRUST_200600_302600_NS11hip_rocprim14__parallel_for6kernelILj256ENS1_10for_each_fINS0_6detail15normal_iteratorINS0_10device_ptrI11FixedVectorIiLj1024EEEEEENS5_16wrapped_functionI24SetFixedVectorToConstantIiLj1024EEvEEEElLj1EEEvT0_T1_SI_,comdat
	.protected	_ZN6thrust23THRUST_200600_302600_NS11hip_rocprim14__parallel_for6kernelILj256ENS1_10for_each_fINS0_6detail15normal_iteratorINS0_10device_ptrI11FixedVectorIiLj1024EEEEEENS5_16wrapped_functionI24SetFixedVectorToConstantIiLj1024EEvEEEElLj1EEEvT0_T1_SI_ ; -- Begin function _ZN6thrust23THRUST_200600_302600_NS11hip_rocprim14__parallel_for6kernelILj256ENS1_10for_each_fINS0_6detail15normal_iteratorINS0_10device_ptrI11FixedVectorIiLj1024EEEEEENS5_16wrapped_functionI24SetFixedVectorToConstantIiLj1024EEvEEEElLj1EEEvT0_T1_SI_
	.globl	_ZN6thrust23THRUST_200600_302600_NS11hip_rocprim14__parallel_for6kernelILj256ENS1_10for_each_fINS0_6detail15normal_iteratorINS0_10device_ptrI11FixedVectorIiLj1024EEEEEENS5_16wrapped_functionI24SetFixedVectorToConstantIiLj1024EEvEEEElLj1EEEvT0_T1_SI_
	.p2align	8
	.type	_ZN6thrust23THRUST_200600_302600_NS11hip_rocprim14__parallel_for6kernelILj256ENS1_10for_each_fINS0_6detail15normal_iteratorINS0_10device_ptrI11FixedVectorIiLj1024EEEEEENS5_16wrapped_functionI24SetFixedVectorToConstantIiLj1024EEvEEEElLj1EEEvT0_T1_SI_,@function
_ZN6thrust23THRUST_200600_302600_NS11hip_rocprim14__parallel_for6kernelILj256ENS1_10for_each_fINS0_6detail15normal_iteratorINS0_10device_ptrI11FixedVectorIiLj1024EEEEEENS5_16wrapped_functionI24SetFixedVectorToConstantIiLj1024EEvEEEElLj1EEEvT0_T1_SI_: ; @_ZN6thrust23THRUST_200600_302600_NS11hip_rocprim14__parallel_for6kernelILj256ENS1_10for_each_fINS0_6detail15normal_iteratorINS0_10device_ptrI11FixedVectorIiLj1024EEEEEENS5_16wrapped_functionI24SetFixedVectorToConstantIiLj1024EEvEEEElLj1EEEvT0_T1_SI_
; %bb.0:
	s_load_dwordx4 s[8:11], s[4:5], 0x1008
	s_load_dwordx2 s[0:1], s[4:5], 0x0
	s_lshl_b32 s2, s6, 8
	v_mov_b32_e32 v1, 0x100
	v_mov_b32_e32 v2, 0
	s_waitcnt lgkmcnt(0)
	s_add_u32 s6, s10, s2
	s_addc_u32 s7, s11, 0
	s_sub_u32 s2, s8, s6
	s_subb_u32 s3, s9, s7
	v_cmp_lt_i64_e32 vcc, s[2:3], v[1:2]
	s_and_b64 s[8:9], vcc, exec
	s_cselect_b32 s2, s2, 0x100
	s_cmpk_eq_i32 s2, 0x100
	s_cbranch_scc1 .LBB56_4
; %bb.1:
	v_cmp_gt_u32_e32 vcc, s2, v0
	s_mov_b64 s[8:9], 0
	s_mov_b64 s[2:3], 0
                                        ; implicit-def: $vgpr1_vgpr2
	s_and_saveexec_b64 s[10:11], vcc
; %bb.2:
	s_lshl_b64 s[12:13], s[6:7], 12
	s_add_u32 s12, s0, s12
	s_addc_u32 s13, s1, s13
	v_lshlrev_b32_e32 v1, 12, v0
	v_mov_b32_e32 v2, s13
	v_add_co_u32_e32 v1, vcc, s12, v1
	s_mov_b64 s[2:3], exec
	v_addc_co_u32_e32 v2, vcc, 0, v2, vcc
; %bb.3:
	s_or_b64 exec, exec, s[10:11]
	s_and_b64 vcc, exec, s[8:9]
	s_cbranch_vccnz .LBB56_5
	s_branch .LBB56_6
.LBB56_4:
	s_mov_b64 s[2:3], 0
                                        ; implicit-def: $vgpr1_vgpr2
	s_cbranch_execz .LBB56_6
.LBB56_5:
	s_lshl_b64 s[6:7], s[6:7], 12
	s_add_u32 s0, s0, s6
	s_addc_u32 s1, s1, s7
	v_lshlrev_b32_e32 v0, 12, v0
	v_mov_b32_e32 v2, s1
	v_add_co_u32_e32 v1, vcc, s0, v0
	v_addc_co_u32_e32 v2, vcc, 0, v2, vcc
	s_or_b64 s[2:3], s[2:3], exec
.LBB56_6:
	s_and_saveexec_b64 s[0:1], s[2:3]
	s_cbranch_execz .LBB56_9
; %bb.7:
	v_mov_b32_e32 v3, 0x1000
	v_mov_b32_e32 v4, 0
	s_mov_b64 s[0:1], 0
.LBB56_8:                               ; =>This Inner Loop Header: Depth=1
	s_add_u32 s2, s4, s0
	s_addc_u32 s3, s5, s1
	s_load_dwordx16 s[52:67], s[2:3], 0xc8
	s_load_dwordx16 s[8:23], s[2:3], 0x8
	;; [unrolled: 1-line block ×3, first 2 shown]
	v_mov_b32_e32 v0, s1
	v_add_co_u32_e32 v21, vcc, s0, v1
	s_waitcnt lgkmcnt(0)
	v_mov_b32_e32 v5, s64
	v_mov_b32_e32 v6, s65
	;; [unrolled: 1-line block ×16, first 2 shown]
	s_load_dwordx16 s[52:67], s[2:3], 0x88
	v_addc_co_u32_e32 v22, vcc, v2, v0, vcc
	s_add_u32 s0, s0, 0x100
	flat_store_dwordx4 v[21:22], v[5:8] offset:240
	s_addc_u32 s1, s1, 0
	s_waitcnt lgkmcnt(0)
	v_mov_b32_e32 v5, s64
	v_mov_b32_e32 v6, s65
	;; [unrolled: 1-line block ×4, first 2 shown]
	v_cmp_lt_u64_e32 vcc, s[0:1], v[3:4]
	flat_store_dwordx4 v[21:22], v[9:12] offset:224
	flat_store_dwordx4 v[21:22], v[13:16] offset:208
	v_mov_b32_e32 v9, s60
	v_mov_b32_e32 v10, s61
	v_mov_b32_e32 v11, s62
	v_mov_b32_e32 v12, s63
	v_mov_b32_e32 v13, s56
	v_mov_b32_e32 v14, s57
	v_mov_b32_e32 v15, s58
	v_mov_b32_e32 v16, s59
	flat_store_dwordx4 v[21:22], v[5:8] offset:176
	flat_store_dwordx4 v[21:22], v[9:12] offset:160
	v_mov_b32_e32 v5, s52
	v_mov_b32_e32 v6, s53
	v_mov_b32_e32 v7, s54
	v_mov_b32_e32 v8, s55
	v_mov_b32_e32 v9, s48
	v_mov_b32_e32 v10, s49
	v_mov_b32_e32 v11, s50
	v_mov_b32_e32 v12, s51
	;; [unrolled: 10-line block ×3, first 2 shown]
	s_and_b64 vcc, exec, vcc
	flat_store_dwordx4 v[21:22], v[9:12] offset:112
	flat_store_dwordx4 v[21:22], v[13:16] offset:96
	v_mov_b32_e32 v9, s36
	v_mov_b32_e32 v10, s37
	;; [unrolled: 1-line block ×8, first 2 shown]
	flat_store_dwordx4 v[21:22], v[5:8] offset:80
	flat_store_dwordx4 v[21:22], v[17:20] offset:192
	v_mov_b32_e32 v5, s16
	v_mov_b32_e32 v6, s17
	v_mov_b32_e32 v7, s18
	v_mov_b32_e32 v8, s19
	flat_store_dwordx4 v[21:22], v[9:12] offset:64
	flat_store_dwordx4 v[21:22], v[13:16] offset:48
	v_mov_b32_e32 v9, s12
	v_mov_b32_e32 v10, s13
	;; [unrolled: 1-line block ×8, first 2 shown]
	flat_store_dwordx4 v[21:22], v[5:8] offset:32
	flat_store_dwordx4 v[21:22], v[9:12] offset:16
	flat_store_dwordx4 v[21:22], v[13:16]
	s_cbranch_vccnz .LBB56_8
.LBB56_9:
	s_endpgm
	.section	.rodata,"a",@progbits
	.p2align	6, 0x0
	.amdhsa_kernel _ZN6thrust23THRUST_200600_302600_NS11hip_rocprim14__parallel_for6kernelILj256ENS1_10for_each_fINS0_6detail15normal_iteratorINS0_10device_ptrI11FixedVectorIiLj1024EEEEEENS5_16wrapped_functionI24SetFixedVectorToConstantIiLj1024EEvEEEElLj1EEEvT0_T1_SI_
		.amdhsa_group_segment_fixed_size 0
		.amdhsa_private_segment_fixed_size 0
		.amdhsa_kernarg_size 4120
		.amdhsa_user_sgpr_count 6
		.amdhsa_user_sgpr_private_segment_buffer 1
		.amdhsa_user_sgpr_dispatch_ptr 0
		.amdhsa_user_sgpr_queue_ptr 0
		.amdhsa_user_sgpr_kernarg_segment_ptr 1
		.amdhsa_user_sgpr_dispatch_id 0
		.amdhsa_user_sgpr_flat_scratch_init 0
		.amdhsa_user_sgpr_private_segment_size 0
		.amdhsa_uses_dynamic_stack 0
		.amdhsa_system_sgpr_private_segment_wavefront_offset 0
		.amdhsa_system_sgpr_workgroup_id_x 1
		.amdhsa_system_sgpr_workgroup_id_y 0
		.amdhsa_system_sgpr_workgroup_id_z 0
		.amdhsa_system_sgpr_workgroup_info 0
		.amdhsa_system_vgpr_workitem_id 0
		.amdhsa_next_free_vgpr 23
		.amdhsa_next_free_sgpr 68
		.amdhsa_reserve_vcc 1
		.amdhsa_reserve_flat_scratch 0
		.amdhsa_float_round_mode_32 0
		.amdhsa_float_round_mode_16_64 0
		.amdhsa_float_denorm_mode_32 3
		.amdhsa_float_denorm_mode_16_64 3
		.amdhsa_dx10_clamp 1
		.amdhsa_ieee_mode 1
		.amdhsa_fp16_overflow 0
		.amdhsa_exception_fp_ieee_invalid_op 0
		.amdhsa_exception_fp_denorm_src 0
		.amdhsa_exception_fp_ieee_div_zero 0
		.amdhsa_exception_fp_ieee_overflow 0
		.amdhsa_exception_fp_ieee_underflow 0
		.amdhsa_exception_fp_ieee_inexact 0
		.amdhsa_exception_int_div_zero 0
	.end_amdhsa_kernel
	.section	.text._ZN6thrust23THRUST_200600_302600_NS11hip_rocprim14__parallel_for6kernelILj256ENS1_10for_each_fINS0_6detail15normal_iteratorINS0_10device_ptrI11FixedVectorIiLj1024EEEEEENS5_16wrapped_functionI24SetFixedVectorToConstantIiLj1024EEvEEEElLj1EEEvT0_T1_SI_,"axG",@progbits,_ZN6thrust23THRUST_200600_302600_NS11hip_rocprim14__parallel_for6kernelILj256ENS1_10for_each_fINS0_6detail15normal_iteratorINS0_10device_ptrI11FixedVectorIiLj1024EEEEEENS5_16wrapped_functionI24SetFixedVectorToConstantIiLj1024EEvEEEElLj1EEEvT0_T1_SI_,comdat
.Lfunc_end56:
	.size	_ZN6thrust23THRUST_200600_302600_NS11hip_rocprim14__parallel_for6kernelILj256ENS1_10for_each_fINS0_6detail15normal_iteratorINS0_10device_ptrI11FixedVectorIiLj1024EEEEEENS5_16wrapped_functionI24SetFixedVectorToConstantIiLj1024EEvEEEElLj1EEEvT0_T1_SI_, .Lfunc_end56-_ZN6thrust23THRUST_200600_302600_NS11hip_rocprim14__parallel_for6kernelILj256ENS1_10for_each_fINS0_6detail15normal_iteratorINS0_10device_ptrI11FixedVectorIiLj1024EEEEEENS5_16wrapped_functionI24SetFixedVectorToConstantIiLj1024EEvEEEElLj1EEEvT0_T1_SI_
                                        ; -- End function
	.set _ZN6thrust23THRUST_200600_302600_NS11hip_rocprim14__parallel_for6kernelILj256ENS1_10for_each_fINS0_6detail15normal_iteratorINS0_10device_ptrI11FixedVectorIiLj1024EEEEEENS5_16wrapped_functionI24SetFixedVectorToConstantIiLj1024EEvEEEElLj1EEEvT0_T1_SI_.num_vgpr, 23
	.set _ZN6thrust23THRUST_200600_302600_NS11hip_rocprim14__parallel_for6kernelILj256ENS1_10for_each_fINS0_6detail15normal_iteratorINS0_10device_ptrI11FixedVectorIiLj1024EEEEEENS5_16wrapped_functionI24SetFixedVectorToConstantIiLj1024EEvEEEElLj1EEEvT0_T1_SI_.num_agpr, 0
	.set _ZN6thrust23THRUST_200600_302600_NS11hip_rocprim14__parallel_for6kernelILj256ENS1_10for_each_fINS0_6detail15normal_iteratorINS0_10device_ptrI11FixedVectorIiLj1024EEEEEENS5_16wrapped_functionI24SetFixedVectorToConstantIiLj1024EEvEEEElLj1EEEvT0_T1_SI_.numbered_sgpr, 68
	.set _ZN6thrust23THRUST_200600_302600_NS11hip_rocprim14__parallel_for6kernelILj256ENS1_10for_each_fINS0_6detail15normal_iteratorINS0_10device_ptrI11FixedVectorIiLj1024EEEEEENS5_16wrapped_functionI24SetFixedVectorToConstantIiLj1024EEvEEEElLj1EEEvT0_T1_SI_.num_named_barrier, 0
	.set _ZN6thrust23THRUST_200600_302600_NS11hip_rocprim14__parallel_for6kernelILj256ENS1_10for_each_fINS0_6detail15normal_iteratorINS0_10device_ptrI11FixedVectorIiLj1024EEEEEENS5_16wrapped_functionI24SetFixedVectorToConstantIiLj1024EEvEEEElLj1EEEvT0_T1_SI_.private_seg_size, 0
	.set _ZN6thrust23THRUST_200600_302600_NS11hip_rocprim14__parallel_for6kernelILj256ENS1_10for_each_fINS0_6detail15normal_iteratorINS0_10device_ptrI11FixedVectorIiLj1024EEEEEENS5_16wrapped_functionI24SetFixedVectorToConstantIiLj1024EEvEEEElLj1EEEvT0_T1_SI_.uses_vcc, 1
	.set _ZN6thrust23THRUST_200600_302600_NS11hip_rocprim14__parallel_for6kernelILj256ENS1_10for_each_fINS0_6detail15normal_iteratorINS0_10device_ptrI11FixedVectorIiLj1024EEEEEENS5_16wrapped_functionI24SetFixedVectorToConstantIiLj1024EEvEEEElLj1EEEvT0_T1_SI_.uses_flat_scratch, 0
	.set _ZN6thrust23THRUST_200600_302600_NS11hip_rocprim14__parallel_for6kernelILj256ENS1_10for_each_fINS0_6detail15normal_iteratorINS0_10device_ptrI11FixedVectorIiLj1024EEEEEENS5_16wrapped_functionI24SetFixedVectorToConstantIiLj1024EEvEEEElLj1EEEvT0_T1_SI_.has_dyn_sized_stack, 0
	.set _ZN6thrust23THRUST_200600_302600_NS11hip_rocprim14__parallel_for6kernelILj256ENS1_10for_each_fINS0_6detail15normal_iteratorINS0_10device_ptrI11FixedVectorIiLj1024EEEEEENS5_16wrapped_functionI24SetFixedVectorToConstantIiLj1024EEvEEEElLj1EEEvT0_T1_SI_.has_recursion, 0
	.set _ZN6thrust23THRUST_200600_302600_NS11hip_rocprim14__parallel_for6kernelILj256ENS1_10for_each_fINS0_6detail15normal_iteratorINS0_10device_ptrI11FixedVectorIiLj1024EEEEEENS5_16wrapped_functionI24SetFixedVectorToConstantIiLj1024EEvEEEElLj1EEEvT0_T1_SI_.has_indirect_call, 0
	.section	.AMDGPU.csdata,"",@progbits
; Kernel info:
; codeLenInByte = 676
; TotalNumSgprs: 72
; NumVgprs: 23
; ScratchSize: 0
; MemoryBound: 1
; FloatMode: 240
; IeeeMode: 1
; LDSByteSize: 0 bytes/workgroup (compile time only)
; SGPRBlocks: 8
; VGPRBlocks: 5
; NumSGPRsForWavesPerEU: 72
; NumVGPRsForWavesPerEU: 23
; Occupancy: 10
; WaveLimiterHint : 1
; COMPUTE_PGM_RSRC2:SCRATCH_EN: 0
; COMPUTE_PGM_RSRC2:USER_SGPR: 6
; COMPUTE_PGM_RSRC2:TRAP_HANDLER: 0
; COMPUTE_PGM_RSRC2:TGID_X_EN: 1
; COMPUTE_PGM_RSRC2:TGID_Y_EN: 0
; COMPUTE_PGM_RSRC2:TGID_Z_EN: 0
; COMPUTE_PGM_RSRC2:TIDIG_COMP_CNT: 0
	.section	.text._ZN6thrust23THRUST_200600_302600_NS11hip_rocprim14__parallel_for6kernelILj256ENS1_10for_each_fINS0_6detail15normal_iteratorINS0_10device_ptrI11FixedVectorIiLj1EEEEEENS5_16wrapped_functionI24SetFixedVectorToConstantIiLj1EEvEEEEmLj1EEEvT0_T1_SI_,"axG",@progbits,_ZN6thrust23THRUST_200600_302600_NS11hip_rocprim14__parallel_for6kernelILj256ENS1_10for_each_fINS0_6detail15normal_iteratorINS0_10device_ptrI11FixedVectorIiLj1EEEEEENS5_16wrapped_functionI24SetFixedVectorToConstantIiLj1EEvEEEEmLj1EEEvT0_T1_SI_,comdat
	.protected	_ZN6thrust23THRUST_200600_302600_NS11hip_rocprim14__parallel_for6kernelILj256ENS1_10for_each_fINS0_6detail15normal_iteratorINS0_10device_ptrI11FixedVectorIiLj1EEEEEENS5_16wrapped_functionI24SetFixedVectorToConstantIiLj1EEvEEEEmLj1EEEvT0_T1_SI_ ; -- Begin function _ZN6thrust23THRUST_200600_302600_NS11hip_rocprim14__parallel_for6kernelILj256ENS1_10for_each_fINS0_6detail15normal_iteratorINS0_10device_ptrI11FixedVectorIiLj1EEEEEENS5_16wrapped_functionI24SetFixedVectorToConstantIiLj1EEvEEEEmLj1EEEvT0_T1_SI_
	.globl	_ZN6thrust23THRUST_200600_302600_NS11hip_rocprim14__parallel_for6kernelILj256ENS1_10for_each_fINS0_6detail15normal_iteratorINS0_10device_ptrI11FixedVectorIiLj1EEEEEENS5_16wrapped_functionI24SetFixedVectorToConstantIiLj1EEvEEEEmLj1EEEvT0_T1_SI_
	.p2align	8
	.type	_ZN6thrust23THRUST_200600_302600_NS11hip_rocprim14__parallel_for6kernelILj256ENS1_10for_each_fINS0_6detail15normal_iteratorINS0_10device_ptrI11FixedVectorIiLj1EEEEEENS5_16wrapped_functionI24SetFixedVectorToConstantIiLj1EEvEEEEmLj1EEEvT0_T1_SI_,@function
_ZN6thrust23THRUST_200600_302600_NS11hip_rocprim14__parallel_for6kernelILj256ENS1_10for_each_fINS0_6detail15normal_iteratorINS0_10device_ptrI11FixedVectorIiLj1EEEEEENS5_16wrapped_functionI24SetFixedVectorToConstantIiLj1EEvEEEEmLj1EEEvT0_T1_SI_: ; @_ZN6thrust23THRUST_200600_302600_NS11hip_rocprim14__parallel_for6kernelILj256ENS1_10for_each_fINS0_6detail15normal_iteratorINS0_10device_ptrI11FixedVectorIiLj1EEEEEENS5_16wrapped_functionI24SetFixedVectorToConstantIiLj1EEvEEEEmLj1EEEvT0_T1_SI_
; %bb.0:
	s_load_dwordx4 s[12:15], s[4:5], 0x10
	s_load_dwordx2 s[0:1], s[4:5], 0x0
	s_load_dword s8, s[4:5], 0x8
	s_lshl_b32 s2, s6, 8
	v_mov_b32_e32 v1, 0xff
	s_waitcnt lgkmcnt(0)
	s_add_u32 s2, s14, s2
	s_addc_u32 s3, s15, 0
	s_sub_u32 s4, s12, s2
	v_mov_b32_e32 v2, 0
	s_subb_u32 s5, s13, s3
	v_cmp_gt_u64_e32 vcc, s[4:5], v[1:2]
	s_mov_b64 s[6:7], -1
	s_cbranch_vccz .LBB57_3
; %bb.1:
	s_andn2_b64 vcc, exec, s[6:7]
	s_cbranch_vccz .LBB57_6
.LBB57_2:
	s_endpgm
.LBB57_3:
	v_cmp_gt_u32_e32 vcc, s4, v0
	s_and_saveexec_b64 s[4:5], vcc
	s_cbranch_execz .LBB57_5
; %bb.4:
	s_lshl_b64 s[6:7], s[2:3], 2
	s_add_u32 s6, s0, s6
	s_addc_u32 s7, s1, s7
	v_lshlrev_b32_e32 v1, 2, v0
	v_mov_b32_e32 v2, s7
	v_add_co_u32_e32 v1, vcc, s6, v1
	v_addc_co_u32_e32 v2, vcc, 0, v2, vcc
	v_mov_b32_e32 v3, s8
	flat_store_dword v[1:2], v3
.LBB57_5:
	s_or_b64 exec, exec, s[4:5]
	s_cbranch_execnz .LBB57_2
.LBB57_6:
	s_lshl_b64 s[2:3], s[2:3], 2
	s_add_u32 s0, s0, s2
	s_addc_u32 s1, s1, s3
	v_lshlrev_b32_e32 v0, 2, v0
	v_mov_b32_e32 v1, s1
	v_add_co_u32_e32 v0, vcc, s0, v0
	v_addc_co_u32_e32 v1, vcc, 0, v1, vcc
	v_mov_b32_e32 v2, s8
	flat_store_dword v[0:1], v2
	s_endpgm
	.section	.rodata,"a",@progbits
	.p2align	6, 0x0
	.amdhsa_kernel _ZN6thrust23THRUST_200600_302600_NS11hip_rocprim14__parallel_for6kernelILj256ENS1_10for_each_fINS0_6detail15normal_iteratorINS0_10device_ptrI11FixedVectorIiLj1EEEEEENS5_16wrapped_functionI24SetFixedVectorToConstantIiLj1EEvEEEEmLj1EEEvT0_T1_SI_
		.amdhsa_group_segment_fixed_size 0
		.amdhsa_private_segment_fixed_size 0
		.amdhsa_kernarg_size 32
		.amdhsa_user_sgpr_count 6
		.amdhsa_user_sgpr_private_segment_buffer 1
		.amdhsa_user_sgpr_dispatch_ptr 0
		.amdhsa_user_sgpr_queue_ptr 0
		.amdhsa_user_sgpr_kernarg_segment_ptr 1
		.amdhsa_user_sgpr_dispatch_id 0
		.amdhsa_user_sgpr_flat_scratch_init 0
		.amdhsa_user_sgpr_private_segment_size 0
		.amdhsa_uses_dynamic_stack 0
		.amdhsa_system_sgpr_private_segment_wavefront_offset 0
		.amdhsa_system_sgpr_workgroup_id_x 1
		.amdhsa_system_sgpr_workgroup_id_y 0
		.amdhsa_system_sgpr_workgroup_id_z 0
		.amdhsa_system_sgpr_workgroup_info 0
		.amdhsa_system_vgpr_workitem_id 0
		.amdhsa_next_free_vgpr 4
		.amdhsa_next_free_sgpr 16
		.amdhsa_reserve_vcc 1
		.amdhsa_reserve_flat_scratch 0
		.amdhsa_float_round_mode_32 0
		.amdhsa_float_round_mode_16_64 0
		.amdhsa_float_denorm_mode_32 3
		.amdhsa_float_denorm_mode_16_64 3
		.amdhsa_dx10_clamp 1
		.amdhsa_ieee_mode 1
		.amdhsa_fp16_overflow 0
		.amdhsa_exception_fp_ieee_invalid_op 0
		.amdhsa_exception_fp_denorm_src 0
		.amdhsa_exception_fp_ieee_div_zero 0
		.amdhsa_exception_fp_ieee_overflow 0
		.amdhsa_exception_fp_ieee_underflow 0
		.amdhsa_exception_fp_ieee_inexact 0
		.amdhsa_exception_int_div_zero 0
	.end_amdhsa_kernel
	.section	.text._ZN6thrust23THRUST_200600_302600_NS11hip_rocprim14__parallel_for6kernelILj256ENS1_10for_each_fINS0_6detail15normal_iteratorINS0_10device_ptrI11FixedVectorIiLj1EEEEEENS5_16wrapped_functionI24SetFixedVectorToConstantIiLj1EEvEEEEmLj1EEEvT0_T1_SI_,"axG",@progbits,_ZN6thrust23THRUST_200600_302600_NS11hip_rocprim14__parallel_for6kernelILj256ENS1_10for_each_fINS0_6detail15normal_iteratorINS0_10device_ptrI11FixedVectorIiLj1EEEEEENS5_16wrapped_functionI24SetFixedVectorToConstantIiLj1EEvEEEEmLj1EEEvT0_T1_SI_,comdat
.Lfunc_end57:
	.size	_ZN6thrust23THRUST_200600_302600_NS11hip_rocprim14__parallel_for6kernelILj256ENS1_10for_each_fINS0_6detail15normal_iteratorINS0_10device_ptrI11FixedVectorIiLj1EEEEEENS5_16wrapped_functionI24SetFixedVectorToConstantIiLj1EEvEEEEmLj1EEEvT0_T1_SI_, .Lfunc_end57-_ZN6thrust23THRUST_200600_302600_NS11hip_rocprim14__parallel_for6kernelILj256ENS1_10for_each_fINS0_6detail15normal_iteratorINS0_10device_ptrI11FixedVectorIiLj1EEEEEENS5_16wrapped_functionI24SetFixedVectorToConstantIiLj1EEvEEEEmLj1EEEvT0_T1_SI_
                                        ; -- End function
	.set _ZN6thrust23THRUST_200600_302600_NS11hip_rocprim14__parallel_for6kernelILj256ENS1_10for_each_fINS0_6detail15normal_iteratorINS0_10device_ptrI11FixedVectorIiLj1EEEEEENS5_16wrapped_functionI24SetFixedVectorToConstantIiLj1EEvEEEEmLj1EEEvT0_T1_SI_.num_vgpr, 4
	.set _ZN6thrust23THRUST_200600_302600_NS11hip_rocprim14__parallel_for6kernelILj256ENS1_10for_each_fINS0_6detail15normal_iteratorINS0_10device_ptrI11FixedVectorIiLj1EEEEEENS5_16wrapped_functionI24SetFixedVectorToConstantIiLj1EEvEEEEmLj1EEEvT0_T1_SI_.num_agpr, 0
	.set _ZN6thrust23THRUST_200600_302600_NS11hip_rocprim14__parallel_for6kernelILj256ENS1_10for_each_fINS0_6detail15normal_iteratorINS0_10device_ptrI11FixedVectorIiLj1EEEEEENS5_16wrapped_functionI24SetFixedVectorToConstantIiLj1EEvEEEEmLj1EEEvT0_T1_SI_.numbered_sgpr, 16
	.set _ZN6thrust23THRUST_200600_302600_NS11hip_rocprim14__parallel_for6kernelILj256ENS1_10for_each_fINS0_6detail15normal_iteratorINS0_10device_ptrI11FixedVectorIiLj1EEEEEENS5_16wrapped_functionI24SetFixedVectorToConstantIiLj1EEvEEEEmLj1EEEvT0_T1_SI_.num_named_barrier, 0
	.set _ZN6thrust23THRUST_200600_302600_NS11hip_rocprim14__parallel_for6kernelILj256ENS1_10for_each_fINS0_6detail15normal_iteratorINS0_10device_ptrI11FixedVectorIiLj1EEEEEENS5_16wrapped_functionI24SetFixedVectorToConstantIiLj1EEvEEEEmLj1EEEvT0_T1_SI_.private_seg_size, 0
	.set _ZN6thrust23THRUST_200600_302600_NS11hip_rocprim14__parallel_for6kernelILj256ENS1_10for_each_fINS0_6detail15normal_iteratorINS0_10device_ptrI11FixedVectorIiLj1EEEEEENS5_16wrapped_functionI24SetFixedVectorToConstantIiLj1EEvEEEEmLj1EEEvT0_T1_SI_.uses_vcc, 1
	.set _ZN6thrust23THRUST_200600_302600_NS11hip_rocprim14__parallel_for6kernelILj256ENS1_10for_each_fINS0_6detail15normal_iteratorINS0_10device_ptrI11FixedVectorIiLj1EEEEEENS5_16wrapped_functionI24SetFixedVectorToConstantIiLj1EEvEEEEmLj1EEEvT0_T1_SI_.uses_flat_scratch, 0
	.set _ZN6thrust23THRUST_200600_302600_NS11hip_rocprim14__parallel_for6kernelILj256ENS1_10for_each_fINS0_6detail15normal_iteratorINS0_10device_ptrI11FixedVectorIiLj1EEEEEENS5_16wrapped_functionI24SetFixedVectorToConstantIiLj1EEvEEEEmLj1EEEvT0_T1_SI_.has_dyn_sized_stack, 0
	.set _ZN6thrust23THRUST_200600_302600_NS11hip_rocprim14__parallel_for6kernelILj256ENS1_10for_each_fINS0_6detail15normal_iteratorINS0_10device_ptrI11FixedVectorIiLj1EEEEEENS5_16wrapped_functionI24SetFixedVectorToConstantIiLj1EEvEEEEmLj1EEEvT0_T1_SI_.has_recursion, 0
	.set _ZN6thrust23THRUST_200600_302600_NS11hip_rocprim14__parallel_for6kernelILj256ENS1_10for_each_fINS0_6detail15normal_iteratorINS0_10device_ptrI11FixedVectorIiLj1EEEEEENS5_16wrapped_functionI24SetFixedVectorToConstantIiLj1EEvEEEEmLj1EEEvT0_T1_SI_.has_indirect_call, 0
	.section	.AMDGPU.csdata,"",@progbits
; Kernel info:
; codeLenInByte = 188
; TotalNumSgprs: 20
; NumVgprs: 4
; ScratchSize: 0
; MemoryBound: 0
; FloatMode: 240
; IeeeMode: 1
; LDSByteSize: 0 bytes/workgroup (compile time only)
; SGPRBlocks: 2
; VGPRBlocks: 0
; NumSGPRsForWavesPerEU: 20
; NumVGPRsForWavesPerEU: 4
; Occupancy: 10
; WaveLimiterHint : 0
; COMPUTE_PGM_RSRC2:SCRATCH_EN: 0
; COMPUTE_PGM_RSRC2:USER_SGPR: 6
; COMPUTE_PGM_RSRC2:TRAP_HANDLER: 0
; COMPUTE_PGM_RSRC2:TGID_X_EN: 1
; COMPUTE_PGM_RSRC2:TGID_Y_EN: 0
; COMPUTE_PGM_RSRC2:TGID_Z_EN: 0
; COMPUTE_PGM_RSRC2:TIDIG_COMP_CNT: 0
	.section	.text._ZN6thrust23THRUST_200600_302600_NS11hip_rocprim14__parallel_for6kernelILj256ENS1_10for_each_fINS0_6detail15normal_iteratorINS0_10device_ptrI11FixedVectorIiLj2EEEEEENS5_16wrapped_functionI24SetFixedVectorToConstantIiLj2EEvEEEEmLj1EEEvT0_T1_SI_,"axG",@progbits,_ZN6thrust23THRUST_200600_302600_NS11hip_rocprim14__parallel_for6kernelILj256ENS1_10for_each_fINS0_6detail15normal_iteratorINS0_10device_ptrI11FixedVectorIiLj2EEEEEENS5_16wrapped_functionI24SetFixedVectorToConstantIiLj2EEvEEEEmLj1EEEvT0_T1_SI_,comdat
	.protected	_ZN6thrust23THRUST_200600_302600_NS11hip_rocprim14__parallel_for6kernelILj256ENS1_10for_each_fINS0_6detail15normal_iteratorINS0_10device_ptrI11FixedVectorIiLj2EEEEEENS5_16wrapped_functionI24SetFixedVectorToConstantIiLj2EEvEEEEmLj1EEEvT0_T1_SI_ ; -- Begin function _ZN6thrust23THRUST_200600_302600_NS11hip_rocprim14__parallel_for6kernelILj256ENS1_10for_each_fINS0_6detail15normal_iteratorINS0_10device_ptrI11FixedVectorIiLj2EEEEEENS5_16wrapped_functionI24SetFixedVectorToConstantIiLj2EEvEEEEmLj1EEEvT0_T1_SI_
	.globl	_ZN6thrust23THRUST_200600_302600_NS11hip_rocprim14__parallel_for6kernelILj256ENS1_10for_each_fINS0_6detail15normal_iteratorINS0_10device_ptrI11FixedVectorIiLj2EEEEEENS5_16wrapped_functionI24SetFixedVectorToConstantIiLj2EEvEEEEmLj1EEEvT0_T1_SI_
	.p2align	8
	.type	_ZN6thrust23THRUST_200600_302600_NS11hip_rocprim14__parallel_for6kernelILj256ENS1_10for_each_fINS0_6detail15normal_iteratorINS0_10device_ptrI11FixedVectorIiLj2EEEEEENS5_16wrapped_functionI24SetFixedVectorToConstantIiLj2EEvEEEEmLj1EEEvT0_T1_SI_,@function
_ZN6thrust23THRUST_200600_302600_NS11hip_rocprim14__parallel_for6kernelILj256ENS1_10for_each_fINS0_6detail15normal_iteratorINS0_10device_ptrI11FixedVectorIiLj2EEEEEENS5_16wrapped_functionI24SetFixedVectorToConstantIiLj2EEvEEEEmLj1EEEvT0_T1_SI_: ; @_ZN6thrust23THRUST_200600_302600_NS11hip_rocprim14__parallel_for6kernelILj256ENS1_10for_each_fINS0_6detail15normal_iteratorINS0_10device_ptrI11FixedVectorIiLj2EEEEEENS5_16wrapped_functionI24SetFixedVectorToConstantIiLj2EEvEEEEmLj1EEEvT0_T1_SI_
; %bb.0:
	s_load_dwordx8 s[8:15], s[4:5], 0x0
	s_lshl_b32 s0, s6, 8
	v_mov_b32_e32 v1, 0xff
	v_mov_b32_e32 v2, 0
	s_mov_b64 s[4:5], -1
	s_waitcnt lgkmcnt(0)
	s_add_u32 s0, s14, s0
	s_addc_u32 s1, s15, 0
	s_sub_u32 s2, s12, s0
	s_subb_u32 s3, s13, s1
	v_cmp_gt_u64_e32 vcc, s[2:3], v[1:2]
	s_cbranch_vccz .LBB58_3
; %bb.1:
	s_andn2_b64 vcc, exec, s[4:5]
	s_cbranch_vccz .LBB58_6
.LBB58_2:
	s_endpgm
.LBB58_3:
	v_cmp_gt_u32_e32 vcc, s2, v0
	s_and_saveexec_b64 s[2:3], vcc
	s_cbranch_execz .LBB58_5
; %bb.4:
	s_lshl_b64 s[4:5], s[0:1], 3
	s_add_u32 s4, s8, s4
	s_addc_u32 s5, s9, s5
	v_lshlrev_b32_e32 v1, 3, v0
	v_mov_b32_e32 v2, s5
	v_add_co_u32_e32 v1, vcc, s4, v1
	v_mov_b32_e32 v3, s10
	v_addc_co_u32_e32 v2, vcc, 0, v2, vcc
	v_mov_b32_e32 v4, s11
	flat_store_dwordx2 v[1:2], v[3:4]
.LBB58_5:
	s_or_b64 exec, exec, s[2:3]
	s_cbranch_execnz .LBB58_2
.LBB58_6:
	s_lshl_b64 s[0:1], s[0:1], 3
	s_add_u32 s0, s8, s0
	s_addc_u32 s1, s9, s1
	v_lshlrev_b32_e32 v0, 3, v0
	v_mov_b32_e32 v1, s1
	v_add_co_u32_e32 v0, vcc, s0, v0
	v_mov_b32_e32 v2, s10
	v_addc_co_u32_e32 v1, vcc, 0, v1, vcc
	v_mov_b32_e32 v3, s11
	flat_store_dwordx2 v[0:1], v[2:3]
	s_endpgm
	.section	.rodata,"a",@progbits
	.p2align	6, 0x0
	.amdhsa_kernel _ZN6thrust23THRUST_200600_302600_NS11hip_rocprim14__parallel_for6kernelILj256ENS1_10for_each_fINS0_6detail15normal_iteratorINS0_10device_ptrI11FixedVectorIiLj2EEEEEENS5_16wrapped_functionI24SetFixedVectorToConstantIiLj2EEvEEEEmLj1EEEvT0_T1_SI_
		.amdhsa_group_segment_fixed_size 0
		.amdhsa_private_segment_fixed_size 0
		.amdhsa_kernarg_size 32
		.amdhsa_user_sgpr_count 6
		.amdhsa_user_sgpr_private_segment_buffer 1
		.amdhsa_user_sgpr_dispatch_ptr 0
		.amdhsa_user_sgpr_queue_ptr 0
		.amdhsa_user_sgpr_kernarg_segment_ptr 1
		.amdhsa_user_sgpr_dispatch_id 0
		.amdhsa_user_sgpr_flat_scratch_init 0
		.amdhsa_user_sgpr_private_segment_size 0
		.amdhsa_uses_dynamic_stack 0
		.amdhsa_system_sgpr_private_segment_wavefront_offset 0
		.amdhsa_system_sgpr_workgroup_id_x 1
		.amdhsa_system_sgpr_workgroup_id_y 0
		.amdhsa_system_sgpr_workgroup_id_z 0
		.amdhsa_system_sgpr_workgroup_info 0
		.amdhsa_system_vgpr_workitem_id 0
		.amdhsa_next_free_vgpr 5
		.amdhsa_next_free_sgpr 16
		.amdhsa_reserve_vcc 1
		.amdhsa_reserve_flat_scratch 0
		.amdhsa_float_round_mode_32 0
		.amdhsa_float_round_mode_16_64 0
		.amdhsa_float_denorm_mode_32 3
		.amdhsa_float_denorm_mode_16_64 3
		.amdhsa_dx10_clamp 1
		.amdhsa_ieee_mode 1
		.amdhsa_fp16_overflow 0
		.amdhsa_exception_fp_ieee_invalid_op 0
		.amdhsa_exception_fp_denorm_src 0
		.amdhsa_exception_fp_ieee_div_zero 0
		.amdhsa_exception_fp_ieee_overflow 0
		.amdhsa_exception_fp_ieee_underflow 0
		.amdhsa_exception_fp_ieee_inexact 0
		.amdhsa_exception_int_div_zero 0
	.end_amdhsa_kernel
	.section	.text._ZN6thrust23THRUST_200600_302600_NS11hip_rocprim14__parallel_for6kernelILj256ENS1_10for_each_fINS0_6detail15normal_iteratorINS0_10device_ptrI11FixedVectorIiLj2EEEEEENS5_16wrapped_functionI24SetFixedVectorToConstantIiLj2EEvEEEEmLj1EEEvT0_T1_SI_,"axG",@progbits,_ZN6thrust23THRUST_200600_302600_NS11hip_rocprim14__parallel_for6kernelILj256ENS1_10for_each_fINS0_6detail15normal_iteratorINS0_10device_ptrI11FixedVectorIiLj2EEEEEENS5_16wrapped_functionI24SetFixedVectorToConstantIiLj2EEvEEEEmLj1EEEvT0_T1_SI_,comdat
.Lfunc_end58:
	.size	_ZN6thrust23THRUST_200600_302600_NS11hip_rocprim14__parallel_for6kernelILj256ENS1_10for_each_fINS0_6detail15normal_iteratorINS0_10device_ptrI11FixedVectorIiLj2EEEEEENS5_16wrapped_functionI24SetFixedVectorToConstantIiLj2EEvEEEEmLj1EEEvT0_T1_SI_, .Lfunc_end58-_ZN6thrust23THRUST_200600_302600_NS11hip_rocprim14__parallel_for6kernelILj256ENS1_10for_each_fINS0_6detail15normal_iteratorINS0_10device_ptrI11FixedVectorIiLj2EEEEEENS5_16wrapped_functionI24SetFixedVectorToConstantIiLj2EEvEEEEmLj1EEEvT0_T1_SI_
                                        ; -- End function
	.set _ZN6thrust23THRUST_200600_302600_NS11hip_rocprim14__parallel_for6kernelILj256ENS1_10for_each_fINS0_6detail15normal_iteratorINS0_10device_ptrI11FixedVectorIiLj2EEEEEENS5_16wrapped_functionI24SetFixedVectorToConstantIiLj2EEvEEEEmLj1EEEvT0_T1_SI_.num_vgpr, 5
	.set _ZN6thrust23THRUST_200600_302600_NS11hip_rocprim14__parallel_for6kernelILj256ENS1_10for_each_fINS0_6detail15normal_iteratorINS0_10device_ptrI11FixedVectorIiLj2EEEEEENS5_16wrapped_functionI24SetFixedVectorToConstantIiLj2EEvEEEEmLj1EEEvT0_T1_SI_.num_agpr, 0
	.set _ZN6thrust23THRUST_200600_302600_NS11hip_rocprim14__parallel_for6kernelILj256ENS1_10for_each_fINS0_6detail15normal_iteratorINS0_10device_ptrI11FixedVectorIiLj2EEEEEENS5_16wrapped_functionI24SetFixedVectorToConstantIiLj2EEvEEEEmLj1EEEvT0_T1_SI_.numbered_sgpr, 16
	.set _ZN6thrust23THRUST_200600_302600_NS11hip_rocprim14__parallel_for6kernelILj256ENS1_10for_each_fINS0_6detail15normal_iteratorINS0_10device_ptrI11FixedVectorIiLj2EEEEEENS5_16wrapped_functionI24SetFixedVectorToConstantIiLj2EEvEEEEmLj1EEEvT0_T1_SI_.num_named_barrier, 0
	.set _ZN6thrust23THRUST_200600_302600_NS11hip_rocprim14__parallel_for6kernelILj256ENS1_10for_each_fINS0_6detail15normal_iteratorINS0_10device_ptrI11FixedVectorIiLj2EEEEEENS5_16wrapped_functionI24SetFixedVectorToConstantIiLj2EEvEEEEmLj1EEEvT0_T1_SI_.private_seg_size, 0
	.set _ZN6thrust23THRUST_200600_302600_NS11hip_rocprim14__parallel_for6kernelILj256ENS1_10for_each_fINS0_6detail15normal_iteratorINS0_10device_ptrI11FixedVectorIiLj2EEEEEENS5_16wrapped_functionI24SetFixedVectorToConstantIiLj2EEvEEEEmLj1EEEvT0_T1_SI_.uses_vcc, 1
	.set _ZN6thrust23THRUST_200600_302600_NS11hip_rocprim14__parallel_for6kernelILj256ENS1_10for_each_fINS0_6detail15normal_iteratorINS0_10device_ptrI11FixedVectorIiLj2EEEEEENS5_16wrapped_functionI24SetFixedVectorToConstantIiLj2EEvEEEEmLj1EEEvT0_T1_SI_.uses_flat_scratch, 0
	.set _ZN6thrust23THRUST_200600_302600_NS11hip_rocprim14__parallel_for6kernelILj256ENS1_10for_each_fINS0_6detail15normal_iteratorINS0_10device_ptrI11FixedVectorIiLj2EEEEEENS5_16wrapped_functionI24SetFixedVectorToConstantIiLj2EEvEEEEmLj1EEEvT0_T1_SI_.has_dyn_sized_stack, 0
	.set _ZN6thrust23THRUST_200600_302600_NS11hip_rocprim14__parallel_for6kernelILj256ENS1_10for_each_fINS0_6detail15normal_iteratorINS0_10device_ptrI11FixedVectorIiLj2EEEEEENS5_16wrapped_functionI24SetFixedVectorToConstantIiLj2EEvEEEEmLj1EEEvT0_T1_SI_.has_recursion, 0
	.set _ZN6thrust23THRUST_200600_302600_NS11hip_rocprim14__parallel_for6kernelILj256ENS1_10for_each_fINS0_6detail15normal_iteratorINS0_10device_ptrI11FixedVectorIiLj2EEEEEENS5_16wrapped_functionI24SetFixedVectorToConstantIiLj2EEvEEEEmLj1EEEvT0_T1_SI_.has_indirect_call, 0
	.section	.AMDGPU.csdata,"",@progbits
; Kernel info:
; codeLenInByte = 180
; TotalNumSgprs: 20
; NumVgprs: 5
; ScratchSize: 0
; MemoryBound: 0
; FloatMode: 240
; IeeeMode: 1
; LDSByteSize: 0 bytes/workgroup (compile time only)
; SGPRBlocks: 2
; VGPRBlocks: 1
; NumSGPRsForWavesPerEU: 20
; NumVGPRsForWavesPerEU: 5
; Occupancy: 10
; WaveLimiterHint : 0
; COMPUTE_PGM_RSRC2:SCRATCH_EN: 0
; COMPUTE_PGM_RSRC2:USER_SGPR: 6
; COMPUTE_PGM_RSRC2:TRAP_HANDLER: 0
; COMPUTE_PGM_RSRC2:TGID_X_EN: 1
; COMPUTE_PGM_RSRC2:TGID_Y_EN: 0
; COMPUTE_PGM_RSRC2:TGID_Z_EN: 0
; COMPUTE_PGM_RSRC2:TIDIG_COMP_CNT: 0
	.section	.text._ZN6thrust23THRUST_200600_302600_NS11hip_rocprim14__parallel_for6kernelILj256ENS1_10for_each_fINS0_6detail15normal_iteratorINS0_10device_ptrI11FixedVectorIiLj4EEEEEENS5_16wrapped_functionI24SetFixedVectorToConstantIiLj4EEvEEEEmLj1EEEvT0_T1_SI_,"axG",@progbits,_ZN6thrust23THRUST_200600_302600_NS11hip_rocprim14__parallel_for6kernelILj256ENS1_10for_each_fINS0_6detail15normal_iteratorINS0_10device_ptrI11FixedVectorIiLj4EEEEEENS5_16wrapped_functionI24SetFixedVectorToConstantIiLj4EEvEEEEmLj1EEEvT0_T1_SI_,comdat
	.protected	_ZN6thrust23THRUST_200600_302600_NS11hip_rocprim14__parallel_for6kernelILj256ENS1_10for_each_fINS0_6detail15normal_iteratorINS0_10device_ptrI11FixedVectorIiLj4EEEEEENS5_16wrapped_functionI24SetFixedVectorToConstantIiLj4EEvEEEEmLj1EEEvT0_T1_SI_ ; -- Begin function _ZN6thrust23THRUST_200600_302600_NS11hip_rocprim14__parallel_for6kernelILj256ENS1_10for_each_fINS0_6detail15normal_iteratorINS0_10device_ptrI11FixedVectorIiLj4EEEEEENS5_16wrapped_functionI24SetFixedVectorToConstantIiLj4EEvEEEEmLj1EEEvT0_T1_SI_
	.globl	_ZN6thrust23THRUST_200600_302600_NS11hip_rocprim14__parallel_for6kernelILj256ENS1_10for_each_fINS0_6detail15normal_iteratorINS0_10device_ptrI11FixedVectorIiLj4EEEEEENS5_16wrapped_functionI24SetFixedVectorToConstantIiLj4EEvEEEEmLj1EEEvT0_T1_SI_
	.p2align	8
	.type	_ZN6thrust23THRUST_200600_302600_NS11hip_rocprim14__parallel_for6kernelILj256ENS1_10for_each_fINS0_6detail15normal_iteratorINS0_10device_ptrI11FixedVectorIiLj4EEEEEENS5_16wrapped_functionI24SetFixedVectorToConstantIiLj4EEvEEEEmLj1EEEvT0_T1_SI_,@function
_ZN6thrust23THRUST_200600_302600_NS11hip_rocprim14__parallel_for6kernelILj256ENS1_10for_each_fINS0_6detail15normal_iteratorINS0_10device_ptrI11FixedVectorIiLj4EEEEEENS5_16wrapped_functionI24SetFixedVectorToConstantIiLj4EEvEEEEmLj1EEEvT0_T1_SI_: ; @_ZN6thrust23THRUST_200600_302600_NS11hip_rocprim14__parallel_for6kernelILj256ENS1_10for_each_fINS0_6detail15normal_iteratorINS0_10device_ptrI11FixedVectorIiLj4EEEEEENS5_16wrapped_functionI24SetFixedVectorToConstantIiLj4EEvEEEEmLj1EEEvT0_T1_SI_
; %bb.0:
	s_load_dwordx4 s[8:11], s[4:5], 0x18
	s_load_dwordx2 s[0:1], s[4:5], 0x0
	s_lshl_b32 s2, s6, 8
	v_mov_b32_e32 v1, 0xff
	v_mov_b32_e32 v2, 0
	s_waitcnt lgkmcnt(0)
	s_add_u32 s6, s10, s2
	s_addc_u32 s7, s11, 0
	s_sub_u32 s2, s8, s6
	s_subb_u32 s3, s9, s7
	v_cmp_gt_u64_e32 vcc, s[2:3], v[1:2]
	s_cbranch_vccnz .LBB59_4
; %bb.1:
	v_cmp_gt_u32_e32 vcc, s2, v0
	s_mov_b64 s[8:9], 0
	s_mov_b64 s[2:3], 0
                                        ; implicit-def: $vgpr1_vgpr2
	s_and_saveexec_b64 s[10:11], vcc
; %bb.2:
	s_lshl_b64 s[12:13], s[6:7], 4
	s_add_u32 s12, s0, s12
	s_addc_u32 s13, s1, s13
	v_lshlrev_b32_e32 v1, 4, v0
	v_mov_b32_e32 v2, s13
	v_add_co_u32_e32 v1, vcc, s12, v1
	s_mov_b64 s[2:3], exec
	v_addc_co_u32_e32 v2, vcc, 0, v2, vcc
; %bb.3:
	s_or_b64 exec, exec, s[10:11]
	s_and_b64 vcc, exec, s[8:9]
	s_cbranch_vccnz .LBB59_5
	s_branch .LBB59_6
.LBB59_4:
	s_mov_b64 s[2:3], 0
                                        ; implicit-def: $vgpr1_vgpr2
	s_cbranch_execz .LBB59_6
.LBB59_5:
	s_lshl_b64 s[6:7], s[6:7], 4
	s_add_u32 s0, s0, s6
	s_addc_u32 s1, s1, s7
	v_lshlrev_b32_e32 v0, 4, v0
	v_mov_b32_e32 v2, s1
	v_add_co_u32_e32 v1, vcc, s0, v0
	v_addc_co_u32_e32 v2, vcc, 0, v2, vcc
	s_or_b64 s[2:3], s[2:3], exec
.LBB59_6:
	s_and_saveexec_b64 s[0:1], s[2:3]
	s_cbranch_execnz .LBB59_8
; %bb.7:
	s_endpgm
.LBB59_8:
	s_load_dwordx4 s[0:3], s[4:5], 0x8
	s_waitcnt lgkmcnt(0)
	v_mov_b32_e32 v6, s3
	v_mov_b32_e32 v5, s2
	;; [unrolled: 1-line block ×4, first 2 shown]
	flat_store_dwordx4 v[1:2], v[3:6]
	s_endpgm
	.section	.rodata,"a",@progbits
	.p2align	6, 0x0
	.amdhsa_kernel _ZN6thrust23THRUST_200600_302600_NS11hip_rocprim14__parallel_for6kernelILj256ENS1_10for_each_fINS0_6detail15normal_iteratorINS0_10device_ptrI11FixedVectorIiLj4EEEEEENS5_16wrapped_functionI24SetFixedVectorToConstantIiLj4EEvEEEEmLj1EEEvT0_T1_SI_
		.amdhsa_group_segment_fixed_size 0
		.amdhsa_private_segment_fixed_size 0
		.amdhsa_kernarg_size 40
		.amdhsa_user_sgpr_count 6
		.amdhsa_user_sgpr_private_segment_buffer 1
		.amdhsa_user_sgpr_dispatch_ptr 0
		.amdhsa_user_sgpr_queue_ptr 0
		.amdhsa_user_sgpr_kernarg_segment_ptr 1
		.amdhsa_user_sgpr_dispatch_id 0
		.amdhsa_user_sgpr_flat_scratch_init 0
		.amdhsa_user_sgpr_private_segment_size 0
		.amdhsa_uses_dynamic_stack 0
		.amdhsa_system_sgpr_private_segment_wavefront_offset 0
		.amdhsa_system_sgpr_workgroup_id_x 1
		.amdhsa_system_sgpr_workgroup_id_y 0
		.amdhsa_system_sgpr_workgroup_id_z 0
		.amdhsa_system_sgpr_workgroup_info 0
		.amdhsa_system_vgpr_workitem_id 0
		.amdhsa_next_free_vgpr 7
		.amdhsa_next_free_sgpr 14
		.amdhsa_reserve_vcc 1
		.amdhsa_reserve_flat_scratch 0
		.amdhsa_float_round_mode_32 0
		.amdhsa_float_round_mode_16_64 0
		.amdhsa_float_denorm_mode_32 3
		.amdhsa_float_denorm_mode_16_64 3
		.amdhsa_dx10_clamp 1
		.amdhsa_ieee_mode 1
		.amdhsa_fp16_overflow 0
		.amdhsa_exception_fp_ieee_invalid_op 0
		.amdhsa_exception_fp_denorm_src 0
		.amdhsa_exception_fp_ieee_div_zero 0
		.amdhsa_exception_fp_ieee_overflow 0
		.amdhsa_exception_fp_ieee_underflow 0
		.amdhsa_exception_fp_ieee_inexact 0
		.amdhsa_exception_int_div_zero 0
	.end_amdhsa_kernel
	.section	.text._ZN6thrust23THRUST_200600_302600_NS11hip_rocprim14__parallel_for6kernelILj256ENS1_10for_each_fINS0_6detail15normal_iteratorINS0_10device_ptrI11FixedVectorIiLj4EEEEEENS5_16wrapped_functionI24SetFixedVectorToConstantIiLj4EEvEEEEmLj1EEEvT0_T1_SI_,"axG",@progbits,_ZN6thrust23THRUST_200600_302600_NS11hip_rocprim14__parallel_for6kernelILj256ENS1_10for_each_fINS0_6detail15normal_iteratorINS0_10device_ptrI11FixedVectorIiLj4EEEEEENS5_16wrapped_functionI24SetFixedVectorToConstantIiLj4EEvEEEEmLj1EEEvT0_T1_SI_,comdat
.Lfunc_end59:
	.size	_ZN6thrust23THRUST_200600_302600_NS11hip_rocprim14__parallel_for6kernelILj256ENS1_10for_each_fINS0_6detail15normal_iteratorINS0_10device_ptrI11FixedVectorIiLj4EEEEEENS5_16wrapped_functionI24SetFixedVectorToConstantIiLj4EEvEEEEmLj1EEEvT0_T1_SI_, .Lfunc_end59-_ZN6thrust23THRUST_200600_302600_NS11hip_rocprim14__parallel_for6kernelILj256ENS1_10for_each_fINS0_6detail15normal_iteratorINS0_10device_ptrI11FixedVectorIiLj4EEEEEENS5_16wrapped_functionI24SetFixedVectorToConstantIiLj4EEvEEEEmLj1EEEvT0_T1_SI_
                                        ; -- End function
	.set _ZN6thrust23THRUST_200600_302600_NS11hip_rocprim14__parallel_for6kernelILj256ENS1_10for_each_fINS0_6detail15normal_iteratorINS0_10device_ptrI11FixedVectorIiLj4EEEEEENS5_16wrapped_functionI24SetFixedVectorToConstantIiLj4EEvEEEEmLj1EEEvT0_T1_SI_.num_vgpr, 7
	.set _ZN6thrust23THRUST_200600_302600_NS11hip_rocprim14__parallel_for6kernelILj256ENS1_10for_each_fINS0_6detail15normal_iteratorINS0_10device_ptrI11FixedVectorIiLj4EEEEEENS5_16wrapped_functionI24SetFixedVectorToConstantIiLj4EEvEEEEmLj1EEEvT0_T1_SI_.num_agpr, 0
	.set _ZN6thrust23THRUST_200600_302600_NS11hip_rocprim14__parallel_for6kernelILj256ENS1_10for_each_fINS0_6detail15normal_iteratorINS0_10device_ptrI11FixedVectorIiLj4EEEEEENS5_16wrapped_functionI24SetFixedVectorToConstantIiLj4EEvEEEEmLj1EEEvT0_T1_SI_.numbered_sgpr, 14
	.set _ZN6thrust23THRUST_200600_302600_NS11hip_rocprim14__parallel_for6kernelILj256ENS1_10for_each_fINS0_6detail15normal_iteratorINS0_10device_ptrI11FixedVectorIiLj4EEEEEENS5_16wrapped_functionI24SetFixedVectorToConstantIiLj4EEvEEEEmLj1EEEvT0_T1_SI_.num_named_barrier, 0
	.set _ZN6thrust23THRUST_200600_302600_NS11hip_rocprim14__parallel_for6kernelILj256ENS1_10for_each_fINS0_6detail15normal_iteratorINS0_10device_ptrI11FixedVectorIiLj4EEEEEENS5_16wrapped_functionI24SetFixedVectorToConstantIiLj4EEvEEEEmLj1EEEvT0_T1_SI_.private_seg_size, 0
	.set _ZN6thrust23THRUST_200600_302600_NS11hip_rocprim14__parallel_for6kernelILj256ENS1_10for_each_fINS0_6detail15normal_iteratorINS0_10device_ptrI11FixedVectorIiLj4EEEEEENS5_16wrapped_functionI24SetFixedVectorToConstantIiLj4EEvEEEEmLj1EEEvT0_T1_SI_.uses_vcc, 1
	.set _ZN6thrust23THRUST_200600_302600_NS11hip_rocprim14__parallel_for6kernelILj256ENS1_10for_each_fINS0_6detail15normal_iteratorINS0_10device_ptrI11FixedVectorIiLj4EEEEEENS5_16wrapped_functionI24SetFixedVectorToConstantIiLj4EEvEEEEmLj1EEEvT0_T1_SI_.uses_flat_scratch, 0
	.set _ZN6thrust23THRUST_200600_302600_NS11hip_rocprim14__parallel_for6kernelILj256ENS1_10for_each_fINS0_6detail15normal_iteratorINS0_10device_ptrI11FixedVectorIiLj4EEEEEENS5_16wrapped_functionI24SetFixedVectorToConstantIiLj4EEvEEEEmLj1EEEvT0_T1_SI_.has_dyn_sized_stack, 0
	.set _ZN6thrust23THRUST_200600_302600_NS11hip_rocprim14__parallel_for6kernelILj256ENS1_10for_each_fINS0_6detail15normal_iteratorINS0_10device_ptrI11FixedVectorIiLj4EEEEEENS5_16wrapped_functionI24SetFixedVectorToConstantIiLj4EEvEEEEmLj1EEEvT0_T1_SI_.has_recursion, 0
	.set _ZN6thrust23THRUST_200600_302600_NS11hip_rocprim14__parallel_for6kernelILj256ENS1_10for_each_fINS0_6detail15normal_iteratorINS0_10device_ptrI11FixedVectorIiLj4EEEEEENS5_16wrapped_functionI24SetFixedVectorToConstantIiLj4EEvEEEEmLj1EEEvT0_T1_SI_.has_indirect_call, 0
	.section	.AMDGPU.csdata,"",@progbits
; Kernel info:
; codeLenInByte = 216
; TotalNumSgprs: 18
; NumVgprs: 7
; ScratchSize: 0
; MemoryBound: 0
; FloatMode: 240
; IeeeMode: 1
; LDSByteSize: 0 bytes/workgroup (compile time only)
; SGPRBlocks: 2
; VGPRBlocks: 1
; NumSGPRsForWavesPerEU: 18
; NumVGPRsForWavesPerEU: 7
; Occupancy: 10
; WaveLimiterHint : 0
; COMPUTE_PGM_RSRC2:SCRATCH_EN: 0
; COMPUTE_PGM_RSRC2:USER_SGPR: 6
; COMPUTE_PGM_RSRC2:TRAP_HANDLER: 0
; COMPUTE_PGM_RSRC2:TGID_X_EN: 1
; COMPUTE_PGM_RSRC2:TGID_Y_EN: 0
; COMPUTE_PGM_RSRC2:TGID_Z_EN: 0
; COMPUTE_PGM_RSRC2:TIDIG_COMP_CNT: 0
	.section	.text._ZN6thrust23THRUST_200600_302600_NS11hip_rocprim14__parallel_for6kernelILj256ENS1_10for_each_fINS0_6detail15normal_iteratorINS0_10device_ptrI11FixedVectorIiLj8EEEEEENS5_16wrapped_functionI24SetFixedVectorToConstantIiLj8EEvEEEEmLj1EEEvT0_T1_SI_,"axG",@progbits,_ZN6thrust23THRUST_200600_302600_NS11hip_rocprim14__parallel_for6kernelILj256ENS1_10for_each_fINS0_6detail15normal_iteratorINS0_10device_ptrI11FixedVectorIiLj8EEEEEENS5_16wrapped_functionI24SetFixedVectorToConstantIiLj8EEvEEEEmLj1EEEvT0_T1_SI_,comdat
	.protected	_ZN6thrust23THRUST_200600_302600_NS11hip_rocprim14__parallel_for6kernelILj256ENS1_10for_each_fINS0_6detail15normal_iteratorINS0_10device_ptrI11FixedVectorIiLj8EEEEEENS5_16wrapped_functionI24SetFixedVectorToConstantIiLj8EEvEEEEmLj1EEEvT0_T1_SI_ ; -- Begin function _ZN6thrust23THRUST_200600_302600_NS11hip_rocprim14__parallel_for6kernelILj256ENS1_10for_each_fINS0_6detail15normal_iteratorINS0_10device_ptrI11FixedVectorIiLj8EEEEEENS5_16wrapped_functionI24SetFixedVectorToConstantIiLj8EEvEEEEmLj1EEEvT0_T1_SI_
	.globl	_ZN6thrust23THRUST_200600_302600_NS11hip_rocprim14__parallel_for6kernelILj256ENS1_10for_each_fINS0_6detail15normal_iteratorINS0_10device_ptrI11FixedVectorIiLj8EEEEEENS5_16wrapped_functionI24SetFixedVectorToConstantIiLj8EEvEEEEmLj1EEEvT0_T1_SI_
	.p2align	8
	.type	_ZN6thrust23THRUST_200600_302600_NS11hip_rocprim14__parallel_for6kernelILj256ENS1_10for_each_fINS0_6detail15normal_iteratorINS0_10device_ptrI11FixedVectorIiLj8EEEEEENS5_16wrapped_functionI24SetFixedVectorToConstantIiLj8EEvEEEEmLj1EEEvT0_T1_SI_,@function
_ZN6thrust23THRUST_200600_302600_NS11hip_rocprim14__parallel_for6kernelILj256ENS1_10for_each_fINS0_6detail15normal_iteratorINS0_10device_ptrI11FixedVectorIiLj8EEEEEENS5_16wrapped_functionI24SetFixedVectorToConstantIiLj8EEvEEEEmLj1EEEvT0_T1_SI_: ; @_ZN6thrust23THRUST_200600_302600_NS11hip_rocprim14__parallel_for6kernelILj256ENS1_10for_each_fINS0_6detail15normal_iteratorINS0_10device_ptrI11FixedVectorIiLj8EEEEEENS5_16wrapped_functionI24SetFixedVectorToConstantIiLj8EEvEEEEmLj1EEEvT0_T1_SI_
; %bb.0:
	s_load_dwordx4 s[8:11], s[4:5], 0x28
	s_load_dwordx2 s[0:1], s[4:5], 0x0
	s_lshl_b32 s2, s6, 8
	v_mov_b32_e32 v1, 0xff
	v_mov_b32_e32 v2, 0
	s_waitcnt lgkmcnt(0)
	s_add_u32 s6, s10, s2
	s_addc_u32 s7, s11, 0
	s_sub_u32 s2, s8, s6
	s_subb_u32 s3, s9, s7
	v_cmp_gt_u64_e32 vcc, s[2:3], v[1:2]
	s_cbranch_vccnz .LBB60_4
; %bb.1:
	v_cmp_gt_u32_e32 vcc, s2, v0
	s_mov_b64 s[8:9], 0
	s_mov_b64 s[2:3], 0
                                        ; implicit-def: $vgpr1_vgpr2
	s_and_saveexec_b64 s[10:11], vcc
; %bb.2:
	s_lshl_b64 s[12:13], s[6:7], 5
	s_add_u32 s12, s0, s12
	s_addc_u32 s13, s1, s13
	v_lshlrev_b32_e32 v1, 5, v0
	v_mov_b32_e32 v2, s13
	v_add_co_u32_e32 v1, vcc, s12, v1
	s_mov_b64 s[2:3], exec
	v_addc_co_u32_e32 v2, vcc, 0, v2, vcc
; %bb.3:
	s_or_b64 exec, exec, s[10:11]
	s_and_b64 vcc, exec, s[8:9]
	s_cbranch_vccnz .LBB60_5
	s_branch .LBB60_6
.LBB60_4:
	s_mov_b64 s[2:3], 0
                                        ; implicit-def: $vgpr1_vgpr2
	s_cbranch_execz .LBB60_6
.LBB60_5:
	s_lshl_b64 s[6:7], s[6:7], 5
	s_add_u32 s0, s0, s6
	s_addc_u32 s1, s1, s7
	v_lshlrev_b32_e32 v0, 5, v0
	v_mov_b32_e32 v2, s1
	v_add_co_u32_e32 v1, vcc, s0, v0
	v_addc_co_u32_e32 v2, vcc, 0, v2, vcc
	s_or_b64 s[2:3], s[2:3], exec
.LBB60_6:
	s_and_saveexec_b64 s[0:1], s[2:3]
	s_cbranch_execnz .LBB60_8
; %bb.7:
	s_endpgm
.LBB60_8:
	s_load_dwordx8 s[8:15], s[4:5], 0x8
	s_waitcnt lgkmcnt(0)
	v_mov_b32_e32 v3, s8
	v_mov_b32_e32 v4, s9
	;; [unrolled: 1-line block ×8, first 2 shown]
	flat_store_dwordx4 v[1:2], v[3:6]
	flat_store_dwordx4 v[1:2], v[7:10] offset:16
	s_endpgm
	.section	.rodata,"a",@progbits
	.p2align	6, 0x0
	.amdhsa_kernel _ZN6thrust23THRUST_200600_302600_NS11hip_rocprim14__parallel_for6kernelILj256ENS1_10for_each_fINS0_6detail15normal_iteratorINS0_10device_ptrI11FixedVectorIiLj8EEEEEENS5_16wrapped_functionI24SetFixedVectorToConstantIiLj8EEvEEEEmLj1EEEvT0_T1_SI_
		.amdhsa_group_segment_fixed_size 0
		.amdhsa_private_segment_fixed_size 0
		.amdhsa_kernarg_size 56
		.amdhsa_user_sgpr_count 6
		.amdhsa_user_sgpr_private_segment_buffer 1
		.amdhsa_user_sgpr_dispatch_ptr 0
		.amdhsa_user_sgpr_queue_ptr 0
		.amdhsa_user_sgpr_kernarg_segment_ptr 1
		.amdhsa_user_sgpr_dispatch_id 0
		.amdhsa_user_sgpr_flat_scratch_init 0
		.amdhsa_user_sgpr_private_segment_size 0
		.amdhsa_uses_dynamic_stack 0
		.amdhsa_system_sgpr_private_segment_wavefront_offset 0
		.amdhsa_system_sgpr_workgroup_id_x 1
		.amdhsa_system_sgpr_workgroup_id_y 0
		.amdhsa_system_sgpr_workgroup_id_z 0
		.amdhsa_system_sgpr_workgroup_info 0
		.amdhsa_system_vgpr_workitem_id 0
		.amdhsa_next_free_vgpr 11
		.amdhsa_next_free_sgpr 16
		.amdhsa_reserve_vcc 1
		.amdhsa_reserve_flat_scratch 0
		.amdhsa_float_round_mode_32 0
		.amdhsa_float_round_mode_16_64 0
		.amdhsa_float_denorm_mode_32 3
		.amdhsa_float_denorm_mode_16_64 3
		.amdhsa_dx10_clamp 1
		.amdhsa_ieee_mode 1
		.amdhsa_fp16_overflow 0
		.amdhsa_exception_fp_ieee_invalid_op 0
		.amdhsa_exception_fp_denorm_src 0
		.amdhsa_exception_fp_ieee_div_zero 0
		.amdhsa_exception_fp_ieee_overflow 0
		.amdhsa_exception_fp_ieee_underflow 0
		.amdhsa_exception_fp_ieee_inexact 0
		.amdhsa_exception_int_div_zero 0
	.end_amdhsa_kernel
	.section	.text._ZN6thrust23THRUST_200600_302600_NS11hip_rocprim14__parallel_for6kernelILj256ENS1_10for_each_fINS0_6detail15normal_iteratorINS0_10device_ptrI11FixedVectorIiLj8EEEEEENS5_16wrapped_functionI24SetFixedVectorToConstantIiLj8EEvEEEEmLj1EEEvT0_T1_SI_,"axG",@progbits,_ZN6thrust23THRUST_200600_302600_NS11hip_rocprim14__parallel_for6kernelILj256ENS1_10for_each_fINS0_6detail15normal_iteratorINS0_10device_ptrI11FixedVectorIiLj8EEEEEENS5_16wrapped_functionI24SetFixedVectorToConstantIiLj8EEvEEEEmLj1EEEvT0_T1_SI_,comdat
.Lfunc_end60:
	.size	_ZN6thrust23THRUST_200600_302600_NS11hip_rocprim14__parallel_for6kernelILj256ENS1_10for_each_fINS0_6detail15normal_iteratorINS0_10device_ptrI11FixedVectorIiLj8EEEEEENS5_16wrapped_functionI24SetFixedVectorToConstantIiLj8EEvEEEEmLj1EEEvT0_T1_SI_, .Lfunc_end60-_ZN6thrust23THRUST_200600_302600_NS11hip_rocprim14__parallel_for6kernelILj256ENS1_10for_each_fINS0_6detail15normal_iteratorINS0_10device_ptrI11FixedVectorIiLj8EEEEEENS5_16wrapped_functionI24SetFixedVectorToConstantIiLj8EEvEEEEmLj1EEEvT0_T1_SI_
                                        ; -- End function
	.set _ZN6thrust23THRUST_200600_302600_NS11hip_rocprim14__parallel_for6kernelILj256ENS1_10for_each_fINS0_6detail15normal_iteratorINS0_10device_ptrI11FixedVectorIiLj8EEEEEENS5_16wrapped_functionI24SetFixedVectorToConstantIiLj8EEvEEEEmLj1EEEvT0_T1_SI_.num_vgpr, 11
	.set _ZN6thrust23THRUST_200600_302600_NS11hip_rocprim14__parallel_for6kernelILj256ENS1_10for_each_fINS0_6detail15normal_iteratorINS0_10device_ptrI11FixedVectorIiLj8EEEEEENS5_16wrapped_functionI24SetFixedVectorToConstantIiLj8EEvEEEEmLj1EEEvT0_T1_SI_.num_agpr, 0
	.set _ZN6thrust23THRUST_200600_302600_NS11hip_rocprim14__parallel_for6kernelILj256ENS1_10for_each_fINS0_6detail15normal_iteratorINS0_10device_ptrI11FixedVectorIiLj8EEEEEENS5_16wrapped_functionI24SetFixedVectorToConstantIiLj8EEvEEEEmLj1EEEvT0_T1_SI_.numbered_sgpr, 16
	.set _ZN6thrust23THRUST_200600_302600_NS11hip_rocprim14__parallel_for6kernelILj256ENS1_10for_each_fINS0_6detail15normal_iteratorINS0_10device_ptrI11FixedVectorIiLj8EEEEEENS5_16wrapped_functionI24SetFixedVectorToConstantIiLj8EEvEEEEmLj1EEEvT0_T1_SI_.num_named_barrier, 0
	.set _ZN6thrust23THRUST_200600_302600_NS11hip_rocprim14__parallel_for6kernelILj256ENS1_10for_each_fINS0_6detail15normal_iteratorINS0_10device_ptrI11FixedVectorIiLj8EEEEEENS5_16wrapped_functionI24SetFixedVectorToConstantIiLj8EEvEEEEmLj1EEEvT0_T1_SI_.private_seg_size, 0
	.set _ZN6thrust23THRUST_200600_302600_NS11hip_rocprim14__parallel_for6kernelILj256ENS1_10for_each_fINS0_6detail15normal_iteratorINS0_10device_ptrI11FixedVectorIiLj8EEEEEENS5_16wrapped_functionI24SetFixedVectorToConstantIiLj8EEvEEEEmLj1EEEvT0_T1_SI_.uses_vcc, 1
	.set _ZN6thrust23THRUST_200600_302600_NS11hip_rocprim14__parallel_for6kernelILj256ENS1_10for_each_fINS0_6detail15normal_iteratorINS0_10device_ptrI11FixedVectorIiLj8EEEEEENS5_16wrapped_functionI24SetFixedVectorToConstantIiLj8EEvEEEEmLj1EEEvT0_T1_SI_.uses_flat_scratch, 0
	.set _ZN6thrust23THRUST_200600_302600_NS11hip_rocprim14__parallel_for6kernelILj256ENS1_10for_each_fINS0_6detail15normal_iteratorINS0_10device_ptrI11FixedVectorIiLj8EEEEEENS5_16wrapped_functionI24SetFixedVectorToConstantIiLj8EEvEEEEmLj1EEEvT0_T1_SI_.has_dyn_sized_stack, 0
	.set _ZN6thrust23THRUST_200600_302600_NS11hip_rocprim14__parallel_for6kernelILj256ENS1_10for_each_fINS0_6detail15normal_iteratorINS0_10device_ptrI11FixedVectorIiLj8EEEEEENS5_16wrapped_functionI24SetFixedVectorToConstantIiLj8EEvEEEEmLj1EEEvT0_T1_SI_.has_recursion, 0
	.set _ZN6thrust23THRUST_200600_302600_NS11hip_rocprim14__parallel_for6kernelILj256ENS1_10for_each_fINS0_6detail15normal_iteratorINS0_10device_ptrI11FixedVectorIiLj8EEEEEENS5_16wrapped_functionI24SetFixedVectorToConstantIiLj8EEvEEEEmLj1EEEvT0_T1_SI_.has_indirect_call, 0
	.section	.AMDGPU.csdata,"",@progbits
; Kernel info:
; codeLenInByte = 240
; TotalNumSgprs: 20
; NumVgprs: 11
; ScratchSize: 0
; MemoryBound: 0
; FloatMode: 240
; IeeeMode: 1
; LDSByteSize: 0 bytes/workgroup (compile time only)
; SGPRBlocks: 2
; VGPRBlocks: 2
; NumSGPRsForWavesPerEU: 20
; NumVGPRsForWavesPerEU: 11
; Occupancy: 10
; WaveLimiterHint : 0
; COMPUTE_PGM_RSRC2:SCRATCH_EN: 0
; COMPUTE_PGM_RSRC2:USER_SGPR: 6
; COMPUTE_PGM_RSRC2:TRAP_HANDLER: 0
; COMPUTE_PGM_RSRC2:TGID_X_EN: 1
; COMPUTE_PGM_RSRC2:TGID_Y_EN: 0
; COMPUTE_PGM_RSRC2:TGID_Z_EN: 0
; COMPUTE_PGM_RSRC2:TIDIG_COMP_CNT: 0
	.section	.text._ZN6thrust23THRUST_200600_302600_NS11hip_rocprim14__parallel_for6kernelILj256ENS1_10for_each_fINS0_6detail15normal_iteratorINS0_10device_ptrI11FixedVectorIiLj16EEEEEENS5_16wrapped_functionI24SetFixedVectorToConstantIiLj16EEvEEEEmLj1EEEvT0_T1_SI_,"axG",@progbits,_ZN6thrust23THRUST_200600_302600_NS11hip_rocprim14__parallel_for6kernelILj256ENS1_10for_each_fINS0_6detail15normal_iteratorINS0_10device_ptrI11FixedVectorIiLj16EEEEEENS5_16wrapped_functionI24SetFixedVectorToConstantIiLj16EEvEEEEmLj1EEEvT0_T1_SI_,comdat
	.protected	_ZN6thrust23THRUST_200600_302600_NS11hip_rocprim14__parallel_for6kernelILj256ENS1_10for_each_fINS0_6detail15normal_iteratorINS0_10device_ptrI11FixedVectorIiLj16EEEEEENS5_16wrapped_functionI24SetFixedVectorToConstantIiLj16EEvEEEEmLj1EEEvT0_T1_SI_ ; -- Begin function _ZN6thrust23THRUST_200600_302600_NS11hip_rocprim14__parallel_for6kernelILj256ENS1_10for_each_fINS0_6detail15normal_iteratorINS0_10device_ptrI11FixedVectorIiLj16EEEEEENS5_16wrapped_functionI24SetFixedVectorToConstantIiLj16EEvEEEEmLj1EEEvT0_T1_SI_
	.globl	_ZN6thrust23THRUST_200600_302600_NS11hip_rocprim14__parallel_for6kernelILj256ENS1_10for_each_fINS0_6detail15normal_iteratorINS0_10device_ptrI11FixedVectorIiLj16EEEEEENS5_16wrapped_functionI24SetFixedVectorToConstantIiLj16EEvEEEEmLj1EEEvT0_T1_SI_
	.p2align	8
	.type	_ZN6thrust23THRUST_200600_302600_NS11hip_rocprim14__parallel_for6kernelILj256ENS1_10for_each_fINS0_6detail15normal_iteratorINS0_10device_ptrI11FixedVectorIiLj16EEEEEENS5_16wrapped_functionI24SetFixedVectorToConstantIiLj16EEvEEEEmLj1EEEvT0_T1_SI_,@function
_ZN6thrust23THRUST_200600_302600_NS11hip_rocprim14__parallel_for6kernelILj256ENS1_10for_each_fINS0_6detail15normal_iteratorINS0_10device_ptrI11FixedVectorIiLj16EEEEEENS5_16wrapped_functionI24SetFixedVectorToConstantIiLj16EEvEEEEmLj1EEEvT0_T1_SI_: ; @_ZN6thrust23THRUST_200600_302600_NS11hip_rocprim14__parallel_for6kernelILj256ENS1_10for_each_fINS0_6detail15normal_iteratorINS0_10device_ptrI11FixedVectorIiLj16EEEEEENS5_16wrapped_functionI24SetFixedVectorToConstantIiLj16EEvEEEEmLj1EEEvT0_T1_SI_
; %bb.0:
	s_load_dwordx4 s[8:11], s[4:5], 0x48
	s_load_dwordx2 s[0:1], s[4:5], 0x0
	s_lshl_b32 s2, s6, 8
	v_mov_b32_e32 v1, 0xff
	v_mov_b32_e32 v2, 0
	s_waitcnt lgkmcnt(0)
	s_add_u32 s6, s10, s2
	s_addc_u32 s7, s11, 0
	s_sub_u32 s2, s8, s6
	s_subb_u32 s3, s9, s7
	v_cmp_gt_u64_e32 vcc, s[2:3], v[1:2]
	s_cbranch_vccnz .LBB61_4
; %bb.1:
	v_cmp_gt_u32_e32 vcc, s2, v0
	s_mov_b64 s[8:9], 0
	s_mov_b64 s[2:3], 0
                                        ; implicit-def: $vgpr1_vgpr2
	s_and_saveexec_b64 s[10:11], vcc
; %bb.2:
	s_lshl_b64 s[12:13], s[6:7], 6
	s_add_u32 s12, s0, s12
	s_addc_u32 s13, s1, s13
	v_lshlrev_b32_e32 v1, 6, v0
	v_mov_b32_e32 v2, s13
	v_add_co_u32_e32 v1, vcc, s12, v1
	s_mov_b64 s[2:3], exec
	v_addc_co_u32_e32 v2, vcc, 0, v2, vcc
; %bb.3:
	s_or_b64 exec, exec, s[10:11]
	s_and_b64 vcc, exec, s[8:9]
	s_cbranch_vccnz .LBB61_5
	s_branch .LBB61_6
.LBB61_4:
	s_mov_b64 s[2:3], 0
                                        ; implicit-def: $vgpr1_vgpr2
	s_cbranch_execz .LBB61_6
.LBB61_5:
	s_lshl_b64 s[6:7], s[6:7], 6
	s_add_u32 s0, s0, s6
	s_addc_u32 s1, s1, s7
	v_lshlrev_b32_e32 v0, 6, v0
	v_mov_b32_e32 v2, s1
	v_add_co_u32_e32 v1, vcc, s0, v0
	v_addc_co_u32_e32 v2, vcc, 0, v2, vcc
	s_or_b64 s[2:3], s[2:3], exec
.LBB61_6:
	s_and_saveexec_b64 s[0:1], s[2:3]
	s_cbranch_execnz .LBB61_8
; %bb.7:
	s_endpgm
.LBB61_8:
	s_load_dwordx8 s[8:15], s[4:5], 0x8
	s_load_dwordx8 s[16:23], s[4:5], 0x28
	s_waitcnt lgkmcnt(0)
	v_mov_b32_e32 v3, s8
	v_mov_b32_e32 v4, s9
	;; [unrolled: 1-line block ×12, first 2 shown]
	flat_store_dwordx4 v[1:2], v[3:6]
	flat_store_dwordx4 v[1:2], v[7:10] offset:16
	flat_store_dwordx4 v[1:2], v[11:14] offset:32
	v_mov_b32_e32 v3, s20
	v_mov_b32_e32 v4, s21
	;; [unrolled: 1-line block ×4, first 2 shown]
	flat_store_dwordx4 v[1:2], v[3:6] offset:48
	s_endpgm
	.section	.rodata,"a",@progbits
	.p2align	6, 0x0
	.amdhsa_kernel _ZN6thrust23THRUST_200600_302600_NS11hip_rocprim14__parallel_for6kernelILj256ENS1_10for_each_fINS0_6detail15normal_iteratorINS0_10device_ptrI11FixedVectorIiLj16EEEEEENS5_16wrapped_functionI24SetFixedVectorToConstantIiLj16EEvEEEEmLj1EEEvT0_T1_SI_
		.amdhsa_group_segment_fixed_size 0
		.amdhsa_private_segment_fixed_size 0
		.amdhsa_kernarg_size 88
		.amdhsa_user_sgpr_count 6
		.amdhsa_user_sgpr_private_segment_buffer 1
		.amdhsa_user_sgpr_dispatch_ptr 0
		.amdhsa_user_sgpr_queue_ptr 0
		.amdhsa_user_sgpr_kernarg_segment_ptr 1
		.amdhsa_user_sgpr_dispatch_id 0
		.amdhsa_user_sgpr_flat_scratch_init 0
		.amdhsa_user_sgpr_private_segment_size 0
		.amdhsa_uses_dynamic_stack 0
		.amdhsa_system_sgpr_private_segment_wavefront_offset 0
		.amdhsa_system_sgpr_workgroup_id_x 1
		.amdhsa_system_sgpr_workgroup_id_y 0
		.amdhsa_system_sgpr_workgroup_id_z 0
		.amdhsa_system_sgpr_workgroup_info 0
		.amdhsa_system_vgpr_workitem_id 0
		.amdhsa_next_free_vgpr 15
		.amdhsa_next_free_sgpr 24
		.amdhsa_reserve_vcc 1
		.amdhsa_reserve_flat_scratch 0
		.amdhsa_float_round_mode_32 0
		.amdhsa_float_round_mode_16_64 0
		.amdhsa_float_denorm_mode_32 3
		.amdhsa_float_denorm_mode_16_64 3
		.amdhsa_dx10_clamp 1
		.amdhsa_ieee_mode 1
		.amdhsa_fp16_overflow 0
		.amdhsa_exception_fp_ieee_invalid_op 0
		.amdhsa_exception_fp_denorm_src 0
		.amdhsa_exception_fp_ieee_div_zero 0
		.amdhsa_exception_fp_ieee_overflow 0
		.amdhsa_exception_fp_ieee_underflow 0
		.amdhsa_exception_fp_ieee_inexact 0
		.amdhsa_exception_int_div_zero 0
	.end_amdhsa_kernel
	.section	.text._ZN6thrust23THRUST_200600_302600_NS11hip_rocprim14__parallel_for6kernelILj256ENS1_10for_each_fINS0_6detail15normal_iteratorINS0_10device_ptrI11FixedVectorIiLj16EEEEEENS5_16wrapped_functionI24SetFixedVectorToConstantIiLj16EEvEEEEmLj1EEEvT0_T1_SI_,"axG",@progbits,_ZN6thrust23THRUST_200600_302600_NS11hip_rocprim14__parallel_for6kernelILj256ENS1_10for_each_fINS0_6detail15normal_iteratorINS0_10device_ptrI11FixedVectorIiLj16EEEEEENS5_16wrapped_functionI24SetFixedVectorToConstantIiLj16EEvEEEEmLj1EEEvT0_T1_SI_,comdat
.Lfunc_end61:
	.size	_ZN6thrust23THRUST_200600_302600_NS11hip_rocprim14__parallel_for6kernelILj256ENS1_10for_each_fINS0_6detail15normal_iteratorINS0_10device_ptrI11FixedVectorIiLj16EEEEEENS5_16wrapped_functionI24SetFixedVectorToConstantIiLj16EEvEEEEmLj1EEEvT0_T1_SI_, .Lfunc_end61-_ZN6thrust23THRUST_200600_302600_NS11hip_rocprim14__parallel_for6kernelILj256ENS1_10for_each_fINS0_6detail15normal_iteratorINS0_10device_ptrI11FixedVectorIiLj16EEEEEENS5_16wrapped_functionI24SetFixedVectorToConstantIiLj16EEvEEEEmLj1EEEvT0_T1_SI_
                                        ; -- End function
	.set _ZN6thrust23THRUST_200600_302600_NS11hip_rocprim14__parallel_for6kernelILj256ENS1_10for_each_fINS0_6detail15normal_iteratorINS0_10device_ptrI11FixedVectorIiLj16EEEEEENS5_16wrapped_functionI24SetFixedVectorToConstantIiLj16EEvEEEEmLj1EEEvT0_T1_SI_.num_vgpr, 15
	.set _ZN6thrust23THRUST_200600_302600_NS11hip_rocprim14__parallel_for6kernelILj256ENS1_10for_each_fINS0_6detail15normal_iteratorINS0_10device_ptrI11FixedVectorIiLj16EEEEEENS5_16wrapped_functionI24SetFixedVectorToConstantIiLj16EEvEEEEmLj1EEEvT0_T1_SI_.num_agpr, 0
	.set _ZN6thrust23THRUST_200600_302600_NS11hip_rocprim14__parallel_for6kernelILj256ENS1_10for_each_fINS0_6detail15normal_iteratorINS0_10device_ptrI11FixedVectorIiLj16EEEEEENS5_16wrapped_functionI24SetFixedVectorToConstantIiLj16EEvEEEEmLj1EEEvT0_T1_SI_.numbered_sgpr, 24
	.set _ZN6thrust23THRUST_200600_302600_NS11hip_rocprim14__parallel_for6kernelILj256ENS1_10for_each_fINS0_6detail15normal_iteratorINS0_10device_ptrI11FixedVectorIiLj16EEEEEENS5_16wrapped_functionI24SetFixedVectorToConstantIiLj16EEvEEEEmLj1EEEvT0_T1_SI_.num_named_barrier, 0
	.set _ZN6thrust23THRUST_200600_302600_NS11hip_rocprim14__parallel_for6kernelILj256ENS1_10for_each_fINS0_6detail15normal_iteratorINS0_10device_ptrI11FixedVectorIiLj16EEEEEENS5_16wrapped_functionI24SetFixedVectorToConstantIiLj16EEvEEEEmLj1EEEvT0_T1_SI_.private_seg_size, 0
	.set _ZN6thrust23THRUST_200600_302600_NS11hip_rocprim14__parallel_for6kernelILj256ENS1_10for_each_fINS0_6detail15normal_iteratorINS0_10device_ptrI11FixedVectorIiLj16EEEEEENS5_16wrapped_functionI24SetFixedVectorToConstantIiLj16EEvEEEEmLj1EEEvT0_T1_SI_.uses_vcc, 1
	.set _ZN6thrust23THRUST_200600_302600_NS11hip_rocprim14__parallel_for6kernelILj256ENS1_10for_each_fINS0_6detail15normal_iteratorINS0_10device_ptrI11FixedVectorIiLj16EEEEEENS5_16wrapped_functionI24SetFixedVectorToConstantIiLj16EEvEEEEmLj1EEEvT0_T1_SI_.uses_flat_scratch, 0
	.set _ZN6thrust23THRUST_200600_302600_NS11hip_rocprim14__parallel_for6kernelILj256ENS1_10for_each_fINS0_6detail15normal_iteratorINS0_10device_ptrI11FixedVectorIiLj16EEEEEENS5_16wrapped_functionI24SetFixedVectorToConstantIiLj16EEvEEEEmLj1EEEvT0_T1_SI_.has_dyn_sized_stack, 0
	.set _ZN6thrust23THRUST_200600_302600_NS11hip_rocprim14__parallel_for6kernelILj256ENS1_10for_each_fINS0_6detail15normal_iteratorINS0_10device_ptrI11FixedVectorIiLj16EEEEEENS5_16wrapped_functionI24SetFixedVectorToConstantIiLj16EEvEEEEmLj1EEEvT0_T1_SI_.has_recursion, 0
	.set _ZN6thrust23THRUST_200600_302600_NS11hip_rocprim14__parallel_for6kernelILj256ENS1_10for_each_fINS0_6detail15normal_iteratorINS0_10device_ptrI11FixedVectorIiLj16EEEEEENS5_16wrapped_functionI24SetFixedVectorToConstantIiLj16EEvEEEEmLj1EEEvT0_T1_SI_.has_indirect_call, 0
	.section	.AMDGPU.csdata,"",@progbits
; Kernel info:
; codeLenInByte = 296
; TotalNumSgprs: 28
; NumVgprs: 15
; ScratchSize: 0
; MemoryBound: 0
; FloatMode: 240
; IeeeMode: 1
; LDSByteSize: 0 bytes/workgroup (compile time only)
; SGPRBlocks: 3
; VGPRBlocks: 3
; NumSGPRsForWavesPerEU: 28
; NumVGPRsForWavesPerEU: 15
; Occupancy: 10
; WaveLimiterHint : 1
; COMPUTE_PGM_RSRC2:SCRATCH_EN: 0
; COMPUTE_PGM_RSRC2:USER_SGPR: 6
; COMPUTE_PGM_RSRC2:TRAP_HANDLER: 0
; COMPUTE_PGM_RSRC2:TGID_X_EN: 1
; COMPUTE_PGM_RSRC2:TGID_Y_EN: 0
; COMPUTE_PGM_RSRC2:TGID_Z_EN: 0
; COMPUTE_PGM_RSRC2:TIDIG_COMP_CNT: 0
	.section	.text._ZN6thrust23THRUST_200600_302600_NS11hip_rocprim14__parallel_for6kernelILj256ENS1_10for_each_fINS0_6detail15normal_iteratorINS0_10device_ptrI11FixedVectorIiLj32EEEEEENS5_16wrapped_functionI24SetFixedVectorToConstantIiLj32EEvEEEEmLj1EEEvT0_T1_SI_,"axG",@progbits,_ZN6thrust23THRUST_200600_302600_NS11hip_rocprim14__parallel_for6kernelILj256ENS1_10for_each_fINS0_6detail15normal_iteratorINS0_10device_ptrI11FixedVectorIiLj32EEEEEENS5_16wrapped_functionI24SetFixedVectorToConstantIiLj32EEvEEEEmLj1EEEvT0_T1_SI_,comdat
	.protected	_ZN6thrust23THRUST_200600_302600_NS11hip_rocprim14__parallel_for6kernelILj256ENS1_10for_each_fINS0_6detail15normal_iteratorINS0_10device_ptrI11FixedVectorIiLj32EEEEEENS5_16wrapped_functionI24SetFixedVectorToConstantIiLj32EEvEEEEmLj1EEEvT0_T1_SI_ ; -- Begin function _ZN6thrust23THRUST_200600_302600_NS11hip_rocprim14__parallel_for6kernelILj256ENS1_10for_each_fINS0_6detail15normal_iteratorINS0_10device_ptrI11FixedVectorIiLj32EEEEEENS5_16wrapped_functionI24SetFixedVectorToConstantIiLj32EEvEEEEmLj1EEEvT0_T1_SI_
	.globl	_ZN6thrust23THRUST_200600_302600_NS11hip_rocprim14__parallel_for6kernelILj256ENS1_10for_each_fINS0_6detail15normal_iteratorINS0_10device_ptrI11FixedVectorIiLj32EEEEEENS5_16wrapped_functionI24SetFixedVectorToConstantIiLj32EEvEEEEmLj1EEEvT0_T1_SI_
	.p2align	8
	.type	_ZN6thrust23THRUST_200600_302600_NS11hip_rocprim14__parallel_for6kernelILj256ENS1_10for_each_fINS0_6detail15normal_iteratorINS0_10device_ptrI11FixedVectorIiLj32EEEEEENS5_16wrapped_functionI24SetFixedVectorToConstantIiLj32EEvEEEEmLj1EEEvT0_T1_SI_,@function
_ZN6thrust23THRUST_200600_302600_NS11hip_rocprim14__parallel_for6kernelILj256ENS1_10for_each_fINS0_6detail15normal_iteratorINS0_10device_ptrI11FixedVectorIiLj32EEEEEENS5_16wrapped_functionI24SetFixedVectorToConstantIiLj32EEvEEEEmLj1EEEvT0_T1_SI_: ; @_ZN6thrust23THRUST_200600_302600_NS11hip_rocprim14__parallel_for6kernelILj256ENS1_10for_each_fINS0_6detail15normal_iteratorINS0_10device_ptrI11FixedVectorIiLj32EEEEEENS5_16wrapped_functionI24SetFixedVectorToConstantIiLj32EEvEEEEmLj1EEEvT0_T1_SI_
; %bb.0:
	s_load_dwordx4 s[8:11], s[4:5], 0x88
	s_load_dwordx2 s[0:1], s[4:5], 0x0
	s_lshl_b32 s2, s6, 8
	v_mov_b32_e32 v1, 0xff
	v_mov_b32_e32 v2, 0
	s_waitcnt lgkmcnt(0)
	s_add_u32 s6, s10, s2
	s_addc_u32 s7, s11, 0
	s_sub_u32 s2, s8, s6
	s_subb_u32 s3, s9, s7
	v_cmp_gt_u64_e32 vcc, s[2:3], v[1:2]
	s_cbranch_vccnz .LBB62_4
; %bb.1:
	v_cmp_gt_u32_e32 vcc, s2, v0
	s_mov_b64 s[8:9], 0
	s_mov_b64 s[2:3], 0
                                        ; implicit-def: $vgpr1_vgpr2
	s_and_saveexec_b64 s[10:11], vcc
; %bb.2:
	s_lshl_b64 s[12:13], s[6:7], 7
	s_add_u32 s12, s0, s12
	s_addc_u32 s13, s1, s13
	v_lshlrev_b32_e32 v1, 7, v0
	v_mov_b32_e32 v2, s13
	v_add_co_u32_e32 v1, vcc, s12, v1
	s_mov_b64 s[2:3], exec
	v_addc_co_u32_e32 v2, vcc, 0, v2, vcc
; %bb.3:
	s_or_b64 exec, exec, s[10:11]
	s_and_b64 vcc, exec, s[8:9]
	s_cbranch_vccnz .LBB62_5
	s_branch .LBB62_6
.LBB62_4:
	s_mov_b64 s[2:3], 0
                                        ; implicit-def: $vgpr1_vgpr2
	s_cbranch_execz .LBB62_6
.LBB62_5:
	s_lshl_b64 s[6:7], s[6:7], 7
	s_add_u32 s0, s0, s6
	s_addc_u32 s1, s1, s7
	v_lshlrev_b32_e32 v0, 7, v0
	v_mov_b32_e32 v2, s1
	v_add_co_u32_e32 v1, vcc, s0, v0
	v_addc_co_u32_e32 v2, vcc, 0, v2, vcc
	s_or_b64 s[2:3], s[2:3], exec
.LBB62_6:
	s_and_saveexec_b64 s[0:1], s[2:3]
	s_cbranch_execnz .LBB62_8
; %bb.7:
	s_endpgm
.LBB62_8:
	s_load_dwordx8 s[8:15], s[4:5], 0x8
	s_load_dwordx8 s[16:23], s[4:5], 0x28
	s_load_dwordx4 s[0:3], s[4:5], 0x48
	s_waitcnt lgkmcnt(0)
	v_mov_b32_e32 v3, s8
	v_mov_b32_e32 v4, s9
	;; [unrolled: 1-line block ×8, first 2 shown]
	flat_store_dwordx4 v[1:2], v[3:6]
	flat_store_dwordx4 v[1:2], v[7:10] offset:16
	v_mov_b32_e32 v3, s20
	v_mov_b32_e32 v4, s21
	;; [unrolled: 1-line block ×4, first 2 shown]
	s_load_dwordx4 s[8:11], s[4:5], 0x58
	flat_store_dwordx4 v[1:2], v[3:6] offset:48
	s_load_dwordx4 s[12:15], s[4:5], 0x78
	v_mov_b32_e32 v6, s3
	v_mov_b32_e32 v5, s2
	;; [unrolled: 1-line block ×4, first 2 shown]
	s_load_dwordx4 s[0:3], s[4:5], 0x68
	flat_store_dwordx4 v[1:2], v[3:6] offset:64
	v_mov_b32_e32 v11, s16
	s_waitcnt lgkmcnt(0)
	v_mov_b32_e32 v3, s8
	v_mov_b32_e32 v4, s9
	;; [unrolled: 1-line block ×4, first 2 shown]
	flat_store_dwordx4 v[1:2], v[3:6] offset:80
	v_mov_b32_e32 v12, s17
	v_mov_b32_e32 v6, s3
	;; [unrolled: 1-line block ×5, first 2 shown]
	flat_store_dwordx4 v[1:2], v[3:6] offset:96
	v_mov_b32_e32 v13, s18
	v_mov_b32_e32 v3, s12
	;; [unrolled: 1-line block ×6, first 2 shown]
	flat_store_dwordx4 v[1:2], v[11:14] offset:32
	flat_store_dwordx4 v[1:2], v[3:6] offset:112
	s_endpgm
	.section	.rodata,"a",@progbits
	.p2align	6, 0x0
	.amdhsa_kernel _ZN6thrust23THRUST_200600_302600_NS11hip_rocprim14__parallel_for6kernelILj256ENS1_10for_each_fINS0_6detail15normal_iteratorINS0_10device_ptrI11FixedVectorIiLj32EEEEEENS5_16wrapped_functionI24SetFixedVectorToConstantIiLj32EEvEEEEmLj1EEEvT0_T1_SI_
		.amdhsa_group_segment_fixed_size 0
		.amdhsa_private_segment_fixed_size 0
		.amdhsa_kernarg_size 152
		.amdhsa_user_sgpr_count 6
		.amdhsa_user_sgpr_private_segment_buffer 1
		.amdhsa_user_sgpr_dispatch_ptr 0
		.amdhsa_user_sgpr_queue_ptr 0
		.amdhsa_user_sgpr_kernarg_segment_ptr 1
		.amdhsa_user_sgpr_dispatch_id 0
		.amdhsa_user_sgpr_flat_scratch_init 0
		.amdhsa_user_sgpr_private_segment_size 0
		.amdhsa_uses_dynamic_stack 0
		.amdhsa_system_sgpr_private_segment_wavefront_offset 0
		.amdhsa_system_sgpr_workgroup_id_x 1
		.amdhsa_system_sgpr_workgroup_id_y 0
		.amdhsa_system_sgpr_workgroup_id_z 0
		.amdhsa_system_sgpr_workgroup_info 0
		.amdhsa_system_vgpr_workitem_id 0
		.amdhsa_next_free_vgpr 15
		.amdhsa_next_free_sgpr 24
		.amdhsa_reserve_vcc 1
		.amdhsa_reserve_flat_scratch 0
		.amdhsa_float_round_mode_32 0
		.amdhsa_float_round_mode_16_64 0
		.amdhsa_float_denorm_mode_32 3
		.amdhsa_float_denorm_mode_16_64 3
		.amdhsa_dx10_clamp 1
		.amdhsa_ieee_mode 1
		.amdhsa_fp16_overflow 0
		.amdhsa_exception_fp_ieee_invalid_op 0
		.amdhsa_exception_fp_denorm_src 0
		.amdhsa_exception_fp_ieee_div_zero 0
		.amdhsa_exception_fp_ieee_overflow 0
		.amdhsa_exception_fp_ieee_underflow 0
		.amdhsa_exception_fp_ieee_inexact 0
		.amdhsa_exception_int_div_zero 0
	.end_amdhsa_kernel
	.section	.text._ZN6thrust23THRUST_200600_302600_NS11hip_rocprim14__parallel_for6kernelILj256ENS1_10for_each_fINS0_6detail15normal_iteratorINS0_10device_ptrI11FixedVectorIiLj32EEEEEENS5_16wrapped_functionI24SetFixedVectorToConstantIiLj32EEvEEEEmLj1EEEvT0_T1_SI_,"axG",@progbits,_ZN6thrust23THRUST_200600_302600_NS11hip_rocprim14__parallel_for6kernelILj256ENS1_10for_each_fINS0_6detail15normal_iteratorINS0_10device_ptrI11FixedVectorIiLj32EEEEEENS5_16wrapped_functionI24SetFixedVectorToConstantIiLj32EEvEEEEmLj1EEEvT0_T1_SI_,comdat
.Lfunc_end62:
	.size	_ZN6thrust23THRUST_200600_302600_NS11hip_rocprim14__parallel_for6kernelILj256ENS1_10for_each_fINS0_6detail15normal_iteratorINS0_10device_ptrI11FixedVectorIiLj32EEEEEENS5_16wrapped_functionI24SetFixedVectorToConstantIiLj32EEvEEEEmLj1EEEvT0_T1_SI_, .Lfunc_end62-_ZN6thrust23THRUST_200600_302600_NS11hip_rocprim14__parallel_for6kernelILj256ENS1_10for_each_fINS0_6detail15normal_iteratorINS0_10device_ptrI11FixedVectorIiLj32EEEEEENS5_16wrapped_functionI24SetFixedVectorToConstantIiLj32EEvEEEEmLj1EEEvT0_T1_SI_
                                        ; -- End function
	.set _ZN6thrust23THRUST_200600_302600_NS11hip_rocprim14__parallel_for6kernelILj256ENS1_10for_each_fINS0_6detail15normal_iteratorINS0_10device_ptrI11FixedVectorIiLj32EEEEEENS5_16wrapped_functionI24SetFixedVectorToConstantIiLj32EEvEEEEmLj1EEEvT0_T1_SI_.num_vgpr, 15
	.set _ZN6thrust23THRUST_200600_302600_NS11hip_rocprim14__parallel_for6kernelILj256ENS1_10for_each_fINS0_6detail15normal_iteratorINS0_10device_ptrI11FixedVectorIiLj32EEEEEENS5_16wrapped_functionI24SetFixedVectorToConstantIiLj32EEvEEEEmLj1EEEvT0_T1_SI_.num_agpr, 0
	.set _ZN6thrust23THRUST_200600_302600_NS11hip_rocprim14__parallel_for6kernelILj256ENS1_10for_each_fINS0_6detail15normal_iteratorINS0_10device_ptrI11FixedVectorIiLj32EEEEEENS5_16wrapped_functionI24SetFixedVectorToConstantIiLj32EEvEEEEmLj1EEEvT0_T1_SI_.numbered_sgpr, 24
	.set _ZN6thrust23THRUST_200600_302600_NS11hip_rocprim14__parallel_for6kernelILj256ENS1_10for_each_fINS0_6detail15normal_iteratorINS0_10device_ptrI11FixedVectorIiLj32EEEEEENS5_16wrapped_functionI24SetFixedVectorToConstantIiLj32EEvEEEEmLj1EEEvT0_T1_SI_.num_named_barrier, 0
	.set _ZN6thrust23THRUST_200600_302600_NS11hip_rocprim14__parallel_for6kernelILj256ENS1_10for_each_fINS0_6detail15normal_iteratorINS0_10device_ptrI11FixedVectorIiLj32EEEEEENS5_16wrapped_functionI24SetFixedVectorToConstantIiLj32EEvEEEEmLj1EEEvT0_T1_SI_.private_seg_size, 0
	.set _ZN6thrust23THRUST_200600_302600_NS11hip_rocprim14__parallel_for6kernelILj256ENS1_10for_each_fINS0_6detail15normal_iteratorINS0_10device_ptrI11FixedVectorIiLj32EEEEEENS5_16wrapped_functionI24SetFixedVectorToConstantIiLj32EEvEEEEmLj1EEEvT0_T1_SI_.uses_vcc, 1
	.set _ZN6thrust23THRUST_200600_302600_NS11hip_rocprim14__parallel_for6kernelILj256ENS1_10for_each_fINS0_6detail15normal_iteratorINS0_10device_ptrI11FixedVectorIiLj32EEEEEENS5_16wrapped_functionI24SetFixedVectorToConstantIiLj32EEvEEEEmLj1EEEvT0_T1_SI_.uses_flat_scratch, 0
	.set _ZN6thrust23THRUST_200600_302600_NS11hip_rocprim14__parallel_for6kernelILj256ENS1_10for_each_fINS0_6detail15normal_iteratorINS0_10device_ptrI11FixedVectorIiLj32EEEEEENS5_16wrapped_functionI24SetFixedVectorToConstantIiLj32EEvEEEEmLj1EEEvT0_T1_SI_.has_dyn_sized_stack, 0
	.set _ZN6thrust23THRUST_200600_302600_NS11hip_rocprim14__parallel_for6kernelILj256ENS1_10for_each_fINS0_6detail15normal_iteratorINS0_10device_ptrI11FixedVectorIiLj32EEEEEENS5_16wrapped_functionI24SetFixedVectorToConstantIiLj32EEvEEEEmLj1EEEvT0_T1_SI_.has_recursion, 0
	.set _ZN6thrust23THRUST_200600_302600_NS11hip_rocprim14__parallel_for6kernelILj256ENS1_10for_each_fINS0_6detail15normal_iteratorINS0_10device_ptrI11FixedVectorIiLj32EEEEEENS5_16wrapped_functionI24SetFixedVectorToConstantIiLj32EEvEEEEmLj1EEEvT0_T1_SI_.has_indirect_call, 0
	.section	.AMDGPU.csdata,"",@progbits
; Kernel info:
; codeLenInByte = 428
; TotalNumSgprs: 28
; NumVgprs: 15
; ScratchSize: 0
; MemoryBound: 0
; FloatMode: 240
; IeeeMode: 1
; LDSByteSize: 0 bytes/workgroup (compile time only)
; SGPRBlocks: 3
; VGPRBlocks: 3
; NumSGPRsForWavesPerEU: 28
; NumVGPRsForWavesPerEU: 15
; Occupancy: 10
; WaveLimiterHint : 1
; COMPUTE_PGM_RSRC2:SCRATCH_EN: 0
; COMPUTE_PGM_RSRC2:USER_SGPR: 6
; COMPUTE_PGM_RSRC2:TRAP_HANDLER: 0
; COMPUTE_PGM_RSRC2:TGID_X_EN: 1
; COMPUTE_PGM_RSRC2:TGID_Y_EN: 0
; COMPUTE_PGM_RSRC2:TGID_Z_EN: 0
; COMPUTE_PGM_RSRC2:TIDIG_COMP_CNT: 0
	.section	.text._ZN6thrust23THRUST_200600_302600_NS11hip_rocprim14__parallel_for6kernelILj256ENS1_10for_each_fINS0_6detail15normal_iteratorINS0_10device_ptrI11FixedVectorIiLj64EEEEEENS5_16wrapped_functionI24SetFixedVectorToConstantIiLj64EEvEEEEmLj1EEEvT0_T1_SI_,"axG",@progbits,_ZN6thrust23THRUST_200600_302600_NS11hip_rocprim14__parallel_for6kernelILj256ENS1_10for_each_fINS0_6detail15normal_iteratorINS0_10device_ptrI11FixedVectorIiLj64EEEEEENS5_16wrapped_functionI24SetFixedVectorToConstantIiLj64EEvEEEEmLj1EEEvT0_T1_SI_,comdat
	.protected	_ZN6thrust23THRUST_200600_302600_NS11hip_rocprim14__parallel_for6kernelILj256ENS1_10for_each_fINS0_6detail15normal_iteratorINS0_10device_ptrI11FixedVectorIiLj64EEEEEENS5_16wrapped_functionI24SetFixedVectorToConstantIiLj64EEvEEEEmLj1EEEvT0_T1_SI_ ; -- Begin function _ZN6thrust23THRUST_200600_302600_NS11hip_rocprim14__parallel_for6kernelILj256ENS1_10for_each_fINS0_6detail15normal_iteratorINS0_10device_ptrI11FixedVectorIiLj64EEEEEENS5_16wrapped_functionI24SetFixedVectorToConstantIiLj64EEvEEEEmLj1EEEvT0_T1_SI_
	.globl	_ZN6thrust23THRUST_200600_302600_NS11hip_rocprim14__parallel_for6kernelILj256ENS1_10for_each_fINS0_6detail15normal_iteratorINS0_10device_ptrI11FixedVectorIiLj64EEEEEENS5_16wrapped_functionI24SetFixedVectorToConstantIiLj64EEvEEEEmLj1EEEvT0_T1_SI_
	.p2align	8
	.type	_ZN6thrust23THRUST_200600_302600_NS11hip_rocprim14__parallel_for6kernelILj256ENS1_10for_each_fINS0_6detail15normal_iteratorINS0_10device_ptrI11FixedVectorIiLj64EEEEEENS5_16wrapped_functionI24SetFixedVectorToConstantIiLj64EEvEEEEmLj1EEEvT0_T1_SI_,@function
_ZN6thrust23THRUST_200600_302600_NS11hip_rocprim14__parallel_for6kernelILj256ENS1_10for_each_fINS0_6detail15normal_iteratorINS0_10device_ptrI11FixedVectorIiLj64EEEEEENS5_16wrapped_functionI24SetFixedVectorToConstantIiLj64EEvEEEEmLj1EEEvT0_T1_SI_: ; @_ZN6thrust23THRUST_200600_302600_NS11hip_rocprim14__parallel_for6kernelILj256ENS1_10for_each_fINS0_6detail15normal_iteratorINS0_10device_ptrI11FixedVectorIiLj64EEEEEENS5_16wrapped_functionI24SetFixedVectorToConstantIiLj64EEvEEEEmLj1EEEvT0_T1_SI_
; %bb.0:
	s_load_dwordx4 s[8:11], s[4:5], 0x108
	s_load_dwordx2 s[0:1], s[4:5], 0x0
	s_lshl_b32 s2, s6, 8
	v_mov_b32_e32 v1, 0xff
	v_mov_b32_e32 v2, 0
	s_waitcnt lgkmcnt(0)
	s_add_u32 s6, s10, s2
	s_addc_u32 s7, s11, 0
	s_sub_u32 s2, s8, s6
	s_subb_u32 s3, s9, s7
	v_cmp_gt_u64_e32 vcc, s[2:3], v[1:2]
	s_cbranch_vccnz .LBB63_4
; %bb.1:
	v_cmp_gt_u32_e32 vcc, s2, v0
	s_mov_b64 s[8:9], 0
	s_mov_b64 s[2:3], 0
                                        ; implicit-def: $vgpr1_vgpr2
	s_and_saveexec_b64 s[10:11], vcc
; %bb.2:
	s_lshl_b64 s[12:13], s[6:7], 8
	s_add_u32 s12, s0, s12
	s_addc_u32 s13, s1, s13
	v_lshlrev_b32_e32 v1, 8, v0
	v_mov_b32_e32 v2, s13
	v_add_co_u32_e32 v1, vcc, s12, v1
	s_mov_b64 s[2:3], exec
	v_addc_co_u32_e32 v2, vcc, 0, v2, vcc
; %bb.3:
	s_or_b64 exec, exec, s[10:11]
	s_and_b64 vcc, exec, s[8:9]
	s_cbranch_vccnz .LBB63_5
	s_branch .LBB63_6
.LBB63_4:
	s_mov_b64 s[2:3], 0
                                        ; implicit-def: $vgpr1_vgpr2
	s_cbranch_execz .LBB63_6
.LBB63_5:
	s_lshl_b64 s[6:7], s[6:7], 8
	s_add_u32 s0, s0, s6
	s_addc_u32 s1, s1, s7
	v_lshlrev_b32_e32 v0, 8, v0
	v_mov_b32_e32 v2, s1
	v_add_co_u32_e32 v1, vcc, s0, v0
	v_addc_co_u32_e32 v2, vcc, 0, v2, vcc
	s_or_b64 s[2:3], s[2:3], exec
.LBB63_6:
	s_and_saveexec_b64 s[0:1], s[2:3]
	s_cbranch_execnz .LBB63_8
; %bb.7:
	s_endpgm
.LBB63_8:
	s_load_dwordx8 s[8:15], s[4:5], 0x8
	s_load_dwordx8 s[16:23], s[4:5], 0x28
	;; [unrolled: 1-line block ×7, first 2 shown]
	s_waitcnt lgkmcnt(0)
	v_mov_b32_e32 v3, s28
	v_mov_b32_e32 v7, s24
	v_mov_b32_e32 v4, s29
	v_mov_b32_e32 v5, s30
	v_mov_b32_e32 v6, s31
	v_mov_b32_e32 v8, s25
	v_mov_b32_e32 v9, s26
	v_mov_b32_e32 v10, s27
	s_load_dwordx8 s[24:31], s[4:5], 0xa8
	flat_store_dwordx4 v[1:2], v[3:6] offset:240
	flat_store_dwordx4 v[1:2], v[7:10] offset:224
	v_mov_b32_e32 v3, s64
	v_mov_b32_e32 v4, s65
	v_mov_b32_e32 v5, s66
	v_mov_b32_e32 v6, s67
	flat_store_dwordx4 v[1:2], v[3:6] offset:208
	s_nop 0
	v_mov_b32_e32 v3, s60
	v_mov_b32_e32 v4, s61
	v_mov_b32_e32 v5, s62
	v_mov_b32_e32 v6, s63
	flat_store_dwordx4 v[1:2], v[3:6] offset:192
	s_waitcnt lgkmcnt(0)
	v_mov_b32_e32 v3, s28
	v_mov_b32_e32 v4, s29
	v_mov_b32_e32 v5, s30
	v_mov_b32_e32 v6, s31
	flat_store_dwordx4 v[1:2], v[3:6] offset:176
	s_nop 0
	v_mov_b32_e32 v3, s24
	v_mov_b32_e32 v4, s25
	v_mov_b32_e32 v5, s26
	v_mov_b32_e32 v6, s27
	flat_store_dwordx4 v[1:2], v[3:6] offset:160
	s_nop 0
	;; [unrolled: 6-line block ×11, first 2 shown]
	v_mov_b32_e32 v3, s8
	v_mov_b32_e32 v4, s9
	;; [unrolled: 1-line block ×4, first 2 shown]
	flat_store_dwordx4 v[1:2], v[3:6]
	s_endpgm
	.section	.rodata,"a",@progbits
	.p2align	6, 0x0
	.amdhsa_kernel _ZN6thrust23THRUST_200600_302600_NS11hip_rocprim14__parallel_for6kernelILj256ENS1_10for_each_fINS0_6detail15normal_iteratorINS0_10device_ptrI11FixedVectorIiLj64EEEEEENS5_16wrapped_functionI24SetFixedVectorToConstantIiLj64EEvEEEEmLj1EEEvT0_T1_SI_
		.amdhsa_group_segment_fixed_size 0
		.amdhsa_private_segment_fixed_size 0
		.amdhsa_kernarg_size 280
		.amdhsa_user_sgpr_count 6
		.amdhsa_user_sgpr_private_segment_buffer 1
		.amdhsa_user_sgpr_dispatch_ptr 0
		.amdhsa_user_sgpr_queue_ptr 0
		.amdhsa_user_sgpr_kernarg_segment_ptr 1
		.amdhsa_user_sgpr_dispatch_id 0
		.amdhsa_user_sgpr_flat_scratch_init 0
		.amdhsa_user_sgpr_private_segment_size 0
		.amdhsa_uses_dynamic_stack 0
		.amdhsa_system_sgpr_private_segment_wavefront_offset 0
		.amdhsa_system_sgpr_workgroup_id_x 1
		.amdhsa_system_sgpr_workgroup_id_y 0
		.amdhsa_system_sgpr_workgroup_id_z 0
		.amdhsa_system_sgpr_workgroup_info 0
		.amdhsa_system_vgpr_workitem_id 0
		.amdhsa_next_free_vgpr 11
		.amdhsa_next_free_sgpr 68
		.amdhsa_reserve_vcc 1
		.amdhsa_reserve_flat_scratch 0
		.amdhsa_float_round_mode_32 0
		.amdhsa_float_round_mode_16_64 0
		.amdhsa_float_denorm_mode_32 3
		.amdhsa_float_denorm_mode_16_64 3
		.amdhsa_dx10_clamp 1
		.amdhsa_ieee_mode 1
		.amdhsa_fp16_overflow 0
		.amdhsa_exception_fp_ieee_invalid_op 0
		.amdhsa_exception_fp_denorm_src 0
		.amdhsa_exception_fp_ieee_div_zero 0
		.amdhsa_exception_fp_ieee_overflow 0
		.amdhsa_exception_fp_ieee_underflow 0
		.amdhsa_exception_fp_ieee_inexact 0
		.amdhsa_exception_int_div_zero 0
	.end_amdhsa_kernel
	.section	.text._ZN6thrust23THRUST_200600_302600_NS11hip_rocprim14__parallel_for6kernelILj256ENS1_10for_each_fINS0_6detail15normal_iteratorINS0_10device_ptrI11FixedVectorIiLj64EEEEEENS5_16wrapped_functionI24SetFixedVectorToConstantIiLj64EEvEEEEmLj1EEEvT0_T1_SI_,"axG",@progbits,_ZN6thrust23THRUST_200600_302600_NS11hip_rocprim14__parallel_for6kernelILj256ENS1_10for_each_fINS0_6detail15normal_iteratorINS0_10device_ptrI11FixedVectorIiLj64EEEEEENS5_16wrapped_functionI24SetFixedVectorToConstantIiLj64EEvEEEEmLj1EEEvT0_T1_SI_,comdat
.Lfunc_end63:
	.size	_ZN6thrust23THRUST_200600_302600_NS11hip_rocprim14__parallel_for6kernelILj256ENS1_10for_each_fINS0_6detail15normal_iteratorINS0_10device_ptrI11FixedVectorIiLj64EEEEEENS5_16wrapped_functionI24SetFixedVectorToConstantIiLj64EEvEEEEmLj1EEEvT0_T1_SI_, .Lfunc_end63-_ZN6thrust23THRUST_200600_302600_NS11hip_rocprim14__parallel_for6kernelILj256ENS1_10for_each_fINS0_6detail15normal_iteratorINS0_10device_ptrI11FixedVectorIiLj64EEEEEENS5_16wrapped_functionI24SetFixedVectorToConstantIiLj64EEvEEEEmLj1EEEvT0_T1_SI_
                                        ; -- End function
	.set _ZN6thrust23THRUST_200600_302600_NS11hip_rocprim14__parallel_for6kernelILj256ENS1_10for_each_fINS0_6detail15normal_iteratorINS0_10device_ptrI11FixedVectorIiLj64EEEEEENS5_16wrapped_functionI24SetFixedVectorToConstantIiLj64EEvEEEEmLj1EEEvT0_T1_SI_.num_vgpr, 11
	.set _ZN6thrust23THRUST_200600_302600_NS11hip_rocprim14__parallel_for6kernelILj256ENS1_10for_each_fINS0_6detail15normal_iteratorINS0_10device_ptrI11FixedVectorIiLj64EEEEEENS5_16wrapped_functionI24SetFixedVectorToConstantIiLj64EEvEEEEmLj1EEEvT0_T1_SI_.num_agpr, 0
	.set _ZN6thrust23THRUST_200600_302600_NS11hip_rocprim14__parallel_for6kernelILj256ENS1_10for_each_fINS0_6detail15normal_iteratorINS0_10device_ptrI11FixedVectorIiLj64EEEEEENS5_16wrapped_functionI24SetFixedVectorToConstantIiLj64EEvEEEEmLj1EEEvT0_T1_SI_.numbered_sgpr, 68
	.set _ZN6thrust23THRUST_200600_302600_NS11hip_rocprim14__parallel_for6kernelILj256ENS1_10for_each_fINS0_6detail15normal_iteratorINS0_10device_ptrI11FixedVectorIiLj64EEEEEENS5_16wrapped_functionI24SetFixedVectorToConstantIiLj64EEvEEEEmLj1EEEvT0_T1_SI_.num_named_barrier, 0
	.set _ZN6thrust23THRUST_200600_302600_NS11hip_rocprim14__parallel_for6kernelILj256ENS1_10for_each_fINS0_6detail15normal_iteratorINS0_10device_ptrI11FixedVectorIiLj64EEEEEENS5_16wrapped_functionI24SetFixedVectorToConstantIiLj64EEvEEEEmLj1EEEvT0_T1_SI_.private_seg_size, 0
	.set _ZN6thrust23THRUST_200600_302600_NS11hip_rocprim14__parallel_for6kernelILj256ENS1_10for_each_fINS0_6detail15normal_iteratorINS0_10device_ptrI11FixedVectorIiLj64EEEEEENS5_16wrapped_functionI24SetFixedVectorToConstantIiLj64EEvEEEEmLj1EEEvT0_T1_SI_.uses_vcc, 1
	.set _ZN6thrust23THRUST_200600_302600_NS11hip_rocprim14__parallel_for6kernelILj256ENS1_10for_each_fINS0_6detail15normal_iteratorINS0_10device_ptrI11FixedVectorIiLj64EEEEEENS5_16wrapped_functionI24SetFixedVectorToConstantIiLj64EEvEEEEmLj1EEEvT0_T1_SI_.uses_flat_scratch, 0
	.set _ZN6thrust23THRUST_200600_302600_NS11hip_rocprim14__parallel_for6kernelILj256ENS1_10for_each_fINS0_6detail15normal_iteratorINS0_10device_ptrI11FixedVectorIiLj64EEEEEENS5_16wrapped_functionI24SetFixedVectorToConstantIiLj64EEvEEEEmLj1EEEvT0_T1_SI_.has_dyn_sized_stack, 0
	.set _ZN6thrust23THRUST_200600_302600_NS11hip_rocprim14__parallel_for6kernelILj256ENS1_10for_each_fINS0_6detail15normal_iteratorINS0_10device_ptrI11FixedVectorIiLj64EEEEEENS5_16wrapped_functionI24SetFixedVectorToConstantIiLj64EEvEEEEmLj1EEEvT0_T1_SI_.has_recursion, 0
	.set _ZN6thrust23THRUST_200600_302600_NS11hip_rocprim14__parallel_for6kernelILj256ENS1_10for_each_fINS0_6detail15normal_iteratorINS0_10device_ptrI11FixedVectorIiLj64EEEEEENS5_16wrapped_functionI24SetFixedVectorToConstantIiLj64EEvEEEEmLj1EEEvT0_T1_SI_.has_indirect_call, 0
	.section	.AMDGPU.csdata,"",@progbits
; Kernel info:
; codeLenInByte = 684
; TotalNumSgprs: 72
; NumVgprs: 11
; ScratchSize: 0
; MemoryBound: 0
; FloatMode: 240
; IeeeMode: 1
; LDSByteSize: 0 bytes/workgroup (compile time only)
; SGPRBlocks: 8
; VGPRBlocks: 2
; NumSGPRsForWavesPerEU: 72
; NumVGPRsForWavesPerEU: 11
; Occupancy: 10
; WaveLimiterHint : 1
; COMPUTE_PGM_RSRC2:SCRATCH_EN: 0
; COMPUTE_PGM_RSRC2:USER_SGPR: 6
; COMPUTE_PGM_RSRC2:TRAP_HANDLER: 0
; COMPUTE_PGM_RSRC2:TGID_X_EN: 1
; COMPUTE_PGM_RSRC2:TGID_Y_EN: 0
; COMPUTE_PGM_RSRC2:TGID_Z_EN: 0
; COMPUTE_PGM_RSRC2:TIDIG_COMP_CNT: 0
	.section	.text._ZN6thrust23THRUST_200600_302600_NS11hip_rocprim14__parallel_for6kernelILj256ENS1_10for_each_fINS0_6detail15normal_iteratorINS0_10device_ptrI11FixedVectorIiLj128EEEEEENS5_16wrapped_functionI24SetFixedVectorToConstantIiLj128EEvEEEEmLj1EEEvT0_T1_SI_,"axG",@progbits,_ZN6thrust23THRUST_200600_302600_NS11hip_rocprim14__parallel_for6kernelILj256ENS1_10for_each_fINS0_6detail15normal_iteratorINS0_10device_ptrI11FixedVectorIiLj128EEEEEENS5_16wrapped_functionI24SetFixedVectorToConstantIiLj128EEvEEEEmLj1EEEvT0_T1_SI_,comdat
	.protected	_ZN6thrust23THRUST_200600_302600_NS11hip_rocprim14__parallel_for6kernelILj256ENS1_10for_each_fINS0_6detail15normal_iteratorINS0_10device_ptrI11FixedVectorIiLj128EEEEEENS5_16wrapped_functionI24SetFixedVectorToConstantIiLj128EEvEEEEmLj1EEEvT0_T1_SI_ ; -- Begin function _ZN6thrust23THRUST_200600_302600_NS11hip_rocprim14__parallel_for6kernelILj256ENS1_10for_each_fINS0_6detail15normal_iteratorINS0_10device_ptrI11FixedVectorIiLj128EEEEEENS5_16wrapped_functionI24SetFixedVectorToConstantIiLj128EEvEEEEmLj1EEEvT0_T1_SI_
	.globl	_ZN6thrust23THRUST_200600_302600_NS11hip_rocprim14__parallel_for6kernelILj256ENS1_10for_each_fINS0_6detail15normal_iteratorINS0_10device_ptrI11FixedVectorIiLj128EEEEEENS5_16wrapped_functionI24SetFixedVectorToConstantIiLj128EEvEEEEmLj1EEEvT0_T1_SI_
	.p2align	8
	.type	_ZN6thrust23THRUST_200600_302600_NS11hip_rocprim14__parallel_for6kernelILj256ENS1_10for_each_fINS0_6detail15normal_iteratorINS0_10device_ptrI11FixedVectorIiLj128EEEEEENS5_16wrapped_functionI24SetFixedVectorToConstantIiLj128EEvEEEEmLj1EEEvT0_T1_SI_,@function
_ZN6thrust23THRUST_200600_302600_NS11hip_rocprim14__parallel_for6kernelILj256ENS1_10for_each_fINS0_6detail15normal_iteratorINS0_10device_ptrI11FixedVectorIiLj128EEEEEENS5_16wrapped_functionI24SetFixedVectorToConstantIiLj128EEvEEEEmLj1EEEvT0_T1_SI_: ; @_ZN6thrust23THRUST_200600_302600_NS11hip_rocprim14__parallel_for6kernelILj256ENS1_10for_each_fINS0_6detail15normal_iteratorINS0_10device_ptrI11FixedVectorIiLj128EEEEEENS5_16wrapped_functionI24SetFixedVectorToConstantIiLj128EEvEEEEmLj1EEEvT0_T1_SI_
; %bb.0:
	s_load_dwordx4 s[8:11], s[4:5], 0x208
	s_load_dwordx2 s[0:1], s[4:5], 0x0
	s_lshl_b32 s2, s6, 8
	v_mov_b32_e32 v1, 0xff
	v_mov_b32_e32 v2, 0
	s_waitcnt lgkmcnt(0)
	s_add_u32 s6, s10, s2
	s_addc_u32 s7, s11, 0
	s_sub_u32 s2, s8, s6
	s_subb_u32 s3, s9, s7
	v_cmp_gt_u64_e32 vcc, s[2:3], v[1:2]
	s_cbranch_vccnz .LBB64_4
; %bb.1:
	v_cmp_gt_u32_e32 vcc, s2, v0
	s_mov_b64 s[8:9], 0
	s_mov_b64 s[2:3], 0
                                        ; implicit-def: $vgpr1_vgpr2
	s_and_saveexec_b64 s[10:11], vcc
; %bb.2:
	s_lshl_b64 s[12:13], s[6:7], 9
	s_add_u32 s12, s0, s12
	s_addc_u32 s13, s1, s13
	v_lshlrev_b32_e32 v1, 9, v0
	v_mov_b32_e32 v2, s13
	v_add_co_u32_e32 v1, vcc, s12, v1
	s_mov_b64 s[2:3], exec
	v_addc_co_u32_e32 v2, vcc, 0, v2, vcc
; %bb.3:
	s_or_b64 exec, exec, s[10:11]
	s_and_b64 vcc, exec, s[8:9]
	s_cbranch_vccnz .LBB64_5
	s_branch .LBB64_6
.LBB64_4:
	s_mov_b64 s[2:3], 0
                                        ; implicit-def: $vgpr1_vgpr2
	s_cbranch_execz .LBB64_6
.LBB64_5:
	s_lshl_b64 s[6:7], s[6:7], 9
	s_add_u32 s0, s0, s6
	s_addc_u32 s1, s1, s7
	v_lshlrev_b32_e32 v0, 9, v0
	v_mov_b32_e32 v2, s1
	v_add_co_u32_e32 v1, vcc, s0, v0
	v_addc_co_u32_e32 v2, vcc, 0, v2, vcc
	s_or_b64 s[2:3], s[2:3], exec
.LBB64_6:
	s_and_saveexec_b64 s[0:1], s[2:3]
	s_cbranch_execnz .LBB64_8
; %bb.7:
	s_endpgm
.LBB64_8:
	s_load_dwordx8 s[8:15], s[4:5], 0x8
	s_load_dwordx8 s[16:23], s[4:5], 0x28
	;; [unrolled: 1-line block ×7, first 2 shown]
	s_waitcnt lgkmcnt(0)
	v_mov_b32_e32 v3, s28
	v_mov_b32_e32 v7, s24
	;; [unrolled: 1-line block ×8, first 2 shown]
	s_load_dwordx8 s[24:31], s[4:5], 0xa8
	flat_store_dwordx4 v[1:2], v[3:6] offset:240
	flat_store_dwordx4 v[1:2], v[7:10] offset:224
	v_mov_b32_e32 v3, s64
	v_mov_b32_e32 v4, s65
	;; [unrolled: 1-line block ×4, first 2 shown]
	flat_store_dwordx4 v[1:2], v[3:6] offset:208
	s_nop 0
	v_mov_b32_e32 v3, s60
	v_mov_b32_e32 v4, s61
	;; [unrolled: 1-line block ×4, first 2 shown]
	flat_store_dwordx4 v[1:2], v[3:6] offset:192
	s_waitcnt lgkmcnt(0)
	v_mov_b32_e32 v3, s28
	v_mov_b32_e32 v4, s29
	v_mov_b32_e32 v5, s30
	v_mov_b32_e32 v6, s31
	flat_store_dwordx4 v[1:2], v[3:6] offset:176
	s_nop 0
	v_mov_b32_e32 v3, s24
	v_mov_b32_e32 v4, s25
	v_mov_b32_e32 v5, s26
	v_mov_b32_e32 v6, s27
	flat_store_dwordx4 v[1:2], v[3:6] offset:160
	s_nop 0
	;; [unrolled: 6-line block ×11, first 2 shown]
	v_mov_b32_e32 v3, s8
	v_mov_b32_e32 v4, s9
	;; [unrolled: 1-line block ×4, first 2 shown]
	flat_store_dwordx4 v[1:2], v[3:6]
	s_load_dwordx8 s[8:15], s[4:5], 0x108
	s_load_dwordx8 s[16:23], s[4:5], 0x128
	;; [unrolled: 1-line block ×7, first 2 shown]
	s_waitcnt lgkmcnt(0)
	v_mov_b32_e32 v3, s28
	v_mov_b32_e32 v7, s24
	;; [unrolled: 1-line block ×8, first 2 shown]
	s_load_dwordx8 s[24:31], s[4:5], 0x1a8
	flat_store_dwordx4 v[1:2], v[3:6] offset:496
	flat_store_dwordx4 v[1:2], v[7:10] offset:480
	v_mov_b32_e32 v3, s64
	v_mov_b32_e32 v4, s65
	;; [unrolled: 1-line block ×4, first 2 shown]
	flat_store_dwordx4 v[1:2], v[3:6] offset:464
	s_nop 0
	v_mov_b32_e32 v3, s60
	v_mov_b32_e32 v4, s61
	;; [unrolled: 1-line block ×4, first 2 shown]
	flat_store_dwordx4 v[1:2], v[3:6] offset:448
	s_waitcnt lgkmcnt(0)
	v_mov_b32_e32 v3, s28
	v_mov_b32_e32 v4, s29
	v_mov_b32_e32 v5, s30
	v_mov_b32_e32 v6, s31
	flat_store_dwordx4 v[1:2], v[3:6] offset:432
	s_nop 0
	v_mov_b32_e32 v3, s24
	v_mov_b32_e32 v4, s25
	v_mov_b32_e32 v5, s26
	v_mov_b32_e32 v6, s27
	flat_store_dwordx4 v[1:2], v[3:6] offset:416
	s_nop 0
	;; [unrolled: 6-line block ×11, first 2 shown]
	v_mov_b32_e32 v3, s8
	v_mov_b32_e32 v4, s9
	;; [unrolled: 1-line block ×4, first 2 shown]
	flat_store_dwordx4 v[1:2], v[3:6] offset:256
	s_endpgm
	.section	.rodata,"a",@progbits
	.p2align	6, 0x0
	.amdhsa_kernel _ZN6thrust23THRUST_200600_302600_NS11hip_rocprim14__parallel_for6kernelILj256ENS1_10for_each_fINS0_6detail15normal_iteratorINS0_10device_ptrI11FixedVectorIiLj128EEEEEENS5_16wrapped_functionI24SetFixedVectorToConstantIiLj128EEvEEEEmLj1EEEvT0_T1_SI_
		.amdhsa_group_segment_fixed_size 0
		.amdhsa_private_segment_fixed_size 0
		.amdhsa_kernarg_size 536
		.amdhsa_user_sgpr_count 6
		.amdhsa_user_sgpr_private_segment_buffer 1
		.amdhsa_user_sgpr_dispatch_ptr 0
		.amdhsa_user_sgpr_queue_ptr 0
		.amdhsa_user_sgpr_kernarg_segment_ptr 1
		.amdhsa_user_sgpr_dispatch_id 0
		.amdhsa_user_sgpr_flat_scratch_init 0
		.amdhsa_user_sgpr_private_segment_size 0
		.amdhsa_uses_dynamic_stack 0
		.amdhsa_system_sgpr_private_segment_wavefront_offset 0
		.amdhsa_system_sgpr_workgroup_id_x 1
		.amdhsa_system_sgpr_workgroup_id_y 0
		.amdhsa_system_sgpr_workgroup_id_z 0
		.amdhsa_system_sgpr_workgroup_info 0
		.amdhsa_system_vgpr_workitem_id 0
		.amdhsa_next_free_vgpr 11
		.amdhsa_next_free_sgpr 68
		.amdhsa_reserve_vcc 1
		.amdhsa_reserve_flat_scratch 0
		.amdhsa_float_round_mode_32 0
		.amdhsa_float_round_mode_16_64 0
		.amdhsa_float_denorm_mode_32 3
		.amdhsa_float_denorm_mode_16_64 3
		.amdhsa_dx10_clamp 1
		.amdhsa_ieee_mode 1
		.amdhsa_fp16_overflow 0
		.amdhsa_exception_fp_ieee_invalid_op 0
		.amdhsa_exception_fp_denorm_src 0
		.amdhsa_exception_fp_ieee_div_zero 0
		.amdhsa_exception_fp_ieee_overflow 0
		.amdhsa_exception_fp_ieee_underflow 0
		.amdhsa_exception_fp_ieee_inexact 0
		.amdhsa_exception_int_div_zero 0
	.end_amdhsa_kernel
	.section	.text._ZN6thrust23THRUST_200600_302600_NS11hip_rocprim14__parallel_for6kernelILj256ENS1_10for_each_fINS0_6detail15normal_iteratorINS0_10device_ptrI11FixedVectorIiLj128EEEEEENS5_16wrapped_functionI24SetFixedVectorToConstantIiLj128EEvEEEEmLj1EEEvT0_T1_SI_,"axG",@progbits,_ZN6thrust23THRUST_200600_302600_NS11hip_rocprim14__parallel_for6kernelILj256ENS1_10for_each_fINS0_6detail15normal_iteratorINS0_10device_ptrI11FixedVectorIiLj128EEEEEENS5_16wrapped_functionI24SetFixedVectorToConstantIiLj128EEvEEEEmLj1EEEvT0_T1_SI_,comdat
.Lfunc_end64:
	.size	_ZN6thrust23THRUST_200600_302600_NS11hip_rocprim14__parallel_for6kernelILj256ENS1_10for_each_fINS0_6detail15normal_iteratorINS0_10device_ptrI11FixedVectorIiLj128EEEEEENS5_16wrapped_functionI24SetFixedVectorToConstantIiLj128EEvEEEEmLj1EEEvT0_T1_SI_, .Lfunc_end64-_ZN6thrust23THRUST_200600_302600_NS11hip_rocprim14__parallel_for6kernelILj256ENS1_10for_each_fINS0_6detail15normal_iteratorINS0_10device_ptrI11FixedVectorIiLj128EEEEEENS5_16wrapped_functionI24SetFixedVectorToConstantIiLj128EEvEEEEmLj1EEEvT0_T1_SI_
                                        ; -- End function
	.set _ZN6thrust23THRUST_200600_302600_NS11hip_rocprim14__parallel_for6kernelILj256ENS1_10for_each_fINS0_6detail15normal_iteratorINS0_10device_ptrI11FixedVectorIiLj128EEEEEENS5_16wrapped_functionI24SetFixedVectorToConstantIiLj128EEvEEEEmLj1EEEvT0_T1_SI_.num_vgpr, 11
	.set _ZN6thrust23THRUST_200600_302600_NS11hip_rocprim14__parallel_for6kernelILj256ENS1_10for_each_fINS0_6detail15normal_iteratorINS0_10device_ptrI11FixedVectorIiLj128EEEEEENS5_16wrapped_functionI24SetFixedVectorToConstantIiLj128EEvEEEEmLj1EEEvT0_T1_SI_.num_agpr, 0
	.set _ZN6thrust23THRUST_200600_302600_NS11hip_rocprim14__parallel_for6kernelILj256ENS1_10for_each_fINS0_6detail15normal_iteratorINS0_10device_ptrI11FixedVectorIiLj128EEEEEENS5_16wrapped_functionI24SetFixedVectorToConstantIiLj128EEvEEEEmLj1EEEvT0_T1_SI_.numbered_sgpr, 68
	.set _ZN6thrust23THRUST_200600_302600_NS11hip_rocprim14__parallel_for6kernelILj256ENS1_10for_each_fINS0_6detail15normal_iteratorINS0_10device_ptrI11FixedVectorIiLj128EEEEEENS5_16wrapped_functionI24SetFixedVectorToConstantIiLj128EEvEEEEmLj1EEEvT0_T1_SI_.num_named_barrier, 0
	.set _ZN6thrust23THRUST_200600_302600_NS11hip_rocprim14__parallel_for6kernelILj256ENS1_10for_each_fINS0_6detail15normal_iteratorINS0_10device_ptrI11FixedVectorIiLj128EEEEEENS5_16wrapped_functionI24SetFixedVectorToConstantIiLj128EEvEEEEmLj1EEEvT0_T1_SI_.private_seg_size, 0
	.set _ZN6thrust23THRUST_200600_302600_NS11hip_rocprim14__parallel_for6kernelILj256ENS1_10for_each_fINS0_6detail15normal_iteratorINS0_10device_ptrI11FixedVectorIiLj128EEEEEENS5_16wrapped_functionI24SetFixedVectorToConstantIiLj128EEvEEEEmLj1EEEvT0_T1_SI_.uses_vcc, 1
	.set _ZN6thrust23THRUST_200600_302600_NS11hip_rocprim14__parallel_for6kernelILj256ENS1_10for_each_fINS0_6detail15normal_iteratorINS0_10device_ptrI11FixedVectorIiLj128EEEEEENS5_16wrapped_functionI24SetFixedVectorToConstantIiLj128EEvEEEEmLj1EEEvT0_T1_SI_.uses_flat_scratch, 0
	.set _ZN6thrust23THRUST_200600_302600_NS11hip_rocprim14__parallel_for6kernelILj256ENS1_10for_each_fINS0_6detail15normal_iteratorINS0_10device_ptrI11FixedVectorIiLj128EEEEEENS5_16wrapped_functionI24SetFixedVectorToConstantIiLj128EEvEEEEmLj1EEEvT0_T1_SI_.has_dyn_sized_stack, 0
	.set _ZN6thrust23THRUST_200600_302600_NS11hip_rocprim14__parallel_for6kernelILj256ENS1_10for_each_fINS0_6detail15normal_iteratorINS0_10device_ptrI11FixedVectorIiLj128EEEEEENS5_16wrapped_functionI24SetFixedVectorToConstantIiLj128EEvEEEEmLj1EEEvT0_T1_SI_.has_recursion, 0
	.set _ZN6thrust23THRUST_200600_302600_NS11hip_rocprim14__parallel_for6kernelILj256ENS1_10for_each_fINS0_6detail15normal_iteratorINS0_10device_ptrI11FixedVectorIiLj128EEEEEENS5_16wrapped_functionI24SetFixedVectorToConstantIiLj128EEvEEEEmLj1EEEvT0_T1_SI_.has_indirect_call, 0
	.section	.AMDGPU.csdata,"",@progbits
; Kernel info:
; codeLenInByte = 1188
; TotalNumSgprs: 72
; NumVgprs: 11
; ScratchSize: 0
; MemoryBound: 0
; FloatMode: 240
; IeeeMode: 1
; LDSByteSize: 0 bytes/workgroup (compile time only)
; SGPRBlocks: 8
; VGPRBlocks: 2
; NumSGPRsForWavesPerEU: 72
; NumVGPRsForWavesPerEU: 11
; Occupancy: 10
; WaveLimiterHint : 1
; COMPUTE_PGM_RSRC2:SCRATCH_EN: 0
; COMPUTE_PGM_RSRC2:USER_SGPR: 6
; COMPUTE_PGM_RSRC2:TRAP_HANDLER: 0
; COMPUTE_PGM_RSRC2:TGID_X_EN: 1
; COMPUTE_PGM_RSRC2:TGID_Y_EN: 0
; COMPUTE_PGM_RSRC2:TGID_Z_EN: 0
; COMPUTE_PGM_RSRC2:TIDIG_COMP_CNT: 0
	.section	.text._ZN6thrust23THRUST_200600_302600_NS11hip_rocprim14__parallel_for6kernelILj256ENS1_10for_each_fINS0_6detail15normal_iteratorINS0_10device_ptrI11FixedVectorIiLj256EEEEEENS5_16wrapped_functionI24SetFixedVectorToConstantIiLj256EEvEEEEmLj1EEEvT0_T1_SI_,"axG",@progbits,_ZN6thrust23THRUST_200600_302600_NS11hip_rocprim14__parallel_for6kernelILj256ENS1_10for_each_fINS0_6detail15normal_iteratorINS0_10device_ptrI11FixedVectorIiLj256EEEEEENS5_16wrapped_functionI24SetFixedVectorToConstantIiLj256EEvEEEEmLj1EEEvT0_T1_SI_,comdat
	.protected	_ZN6thrust23THRUST_200600_302600_NS11hip_rocprim14__parallel_for6kernelILj256ENS1_10for_each_fINS0_6detail15normal_iteratorINS0_10device_ptrI11FixedVectorIiLj256EEEEEENS5_16wrapped_functionI24SetFixedVectorToConstantIiLj256EEvEEEEmLj1EEEvT0_T1_SI_ ; -- Begin function _ZN6thrust23THRUST_200600_302600_NS11hip_rocprim14__parallel_for6kernelILj256ENS1_10for_each_fINS0_6detail15normal_iteratorINS0_10device_ptrI11FixedVectorIiLj256EEEEEENS5_16wrapped_functionI24SetFixedVectorToConstantIiLj256EEvEEEEmLj1EEEvT0_T1_SI_
	.globl	_ZN6thrust23THRUST_200600_302600_NS11hip_rocprim14__parallel_for6kernelILj256ENS1_10for_each_fINS0_6detail15normal_iteratorINS0_10device_ptrI11FixedVectorIiLj256EEEEEENS5_16wrapped_functionI24SetFixedVectorToConstantIiLj256EEvEEEEmLj1EEEvT0_T1_SI_
	.p2align	8
	.type	_ZN6thrust23THRUST_200600_302600_NS11hip_rocprim14__parallel_for6kernelILj256ENS1_10for_each_fINS0_6detail15normal_iteratorINS0_10device_ptrI11FixedVectorIiLj256EEEEEENS5_16wrapped_functionI24SetFixedVectorToConstantIiLj256EEvEEEEmLj1EEEvT0_T1_SI_,@function
_ZN6thrust23THRUST_200600_302600_NS11hip_rocprim14__parallel_for6kernelILj256ENS1_10for_each_fINS0_6detail15normal_iteratorINS0_10device_ptrI11FixedVectorIiLj256EEEEEENS5_16wrapped_functionI24SetFixedVectorToConstantIiLj256EEvEEEEmLj1EEEvT0_T1_SI_: ; @_ZN6thrust23THRUST_200600_302600_NS11hip_rocprim14__parallel_for6kernelILj256ENS1_10for_each_fINS0_6detail15normal_iteratorINS0_10device_ptrI11FixedVectorIiLj256EEEEEENS5_16wrapped_functionI24SetFixedVectorToConstantIiLj256EEvEEEEmLj1EEEvT0_T1_SI_
; %bb.0:
	s_load_dwordx4 s[8:11], s[4:5], 0x408
	s_load_dwordx2 s[0:1], s[4:5], 0x0
	s_lshl_b32 s2, s6, 8
	v_mov_b32_e32 v1, 0xff
	v_mov_b32_e32 v2, 0
	s_waitcnt lgkmcnt(0)
	s_add_u32 s6, s10, s2
	s_addc_u32 s7, s11, 0
	s_sub_u32 s2, s8, s6
	s_subb_u32 s3, s9, s7
	v_cmp_gt_u64_e32 vcc, s[2:3], v[1:2]
	s_cbranch_vccnz .LBB65_4
; %bb.1:
	v_cmp_gt_u32_e32 vcc, s2, v0
	s_mov_b64 s[8:9], 0
	s_mov_b64 s[2:3], 0
                                        ; implicit-def: $vgpr1_vgpr2
	s_and_saveexec_b64 s[10:11], vcc
; %bb.2:
	s_lshl_b64 s[12:13], s[6:7], 10
	s_add_u32 s12, s0, s12
	s_addc_u32 s13, s1, s13
	v_lshlrev_b32_e32 v1, 10, v0
	v_mov_b32_e32 v2, s13
	v_add_co_u32_e32 v1, vcc, s12, v1
	s_mov_b64 s[2:3], exec
	v_addc_co_u32_e32 v2, vcc, 0, v2, vcc
; %bb.3:
	s_or_b64 exec, exec, s[10:11]
	s_and_b64 vcc, exec, s[8:9]
	s_cbranch_vccnz .LBB65_5
	s_branch .LBB65_6
.LBB65_4:
	s_mov_b64 s[2:3], 0
                                        ; implicit-def: $vgpr1_vgpr2
	s_cbranch_execz .LBB65_6
.LBB65_5:
	s_lshl_b64 s[6:7], s[6:7], 10
	s_add_u32 s0, s0, s6
	s_addc_u32 s1, s1, s7
	v_lshlrev_b32_e32 v0, 10, v0
	v_mov_b32_e32 v2, s1
	v_add_co_u32_e32 v1, vcc, s0, v0
	v_addc_co_u32_e32 v2, vcc, 0, v2, vcc
	s_or_b64 s[2:3], s[2:3], exec
.LBB65_6:
	s_and_saveexec_b64 s[0:1], s[2:3]
	s_cbranch_execnz .LBB65_8
; %bb.7:
	s_endpgm
.LBB65_8:
	s_load_dwordx8 s[8:15], s[4:5], 0x8
	s_load_dwordx8 s[16:23], s[4:5], 0x28
	;; [unrolled: 1-line block ×7, first 2 shown]
	s_waitcnt lgkmcnt(0)
	v_mov_b32_e32 v3, s28
	v_mov_b32_e32 v7, s24
	;; [unrolled: 1-line block ×8, first 2 shown]
	s_load_dwordx8 s[24:31], s[4:5], 0xa8
	flat_store_dwordx4 v[1:2], v[3:6] offset:240
	flat_store_dwordx4 v[1:2], v[7:10] offset:224
	v_mov_b32_e32 v3, s64
	v_mov_b32_e32 v4, s65
	;; [unrolled: 1-line block ×4, first 2 shown]
	flat_store_dwordx4 v[1:2], v[3:6] offset:208
	s_nop 0
	v_mov_b32_e32 v3, s60
	v_mov_b32_e32 v4, s61
	;; [unrolled: 1-line block ×4, first 2 shown]
	flat_store_dwordx4 v[1:2], v[3:6] offset:192
	s_waitcnt lgkmcnt(0)
	v_mov_b32_e32 v3, s28
	v_mov_b32_e32 v4, s29
	v_mov_b32_e32 v5, s30
	v_mov_b32_e32 v6, s31
	flat_store_dwordx4 v[1:2], v[3:6] offset:176
	s_nop 0
	v_mov_b32_e32 v3, s24
	v_mov_b32_e32 v4, s25
	v_mov_b32_e32 v5, s26
	v_mov_b32_e32 v6, s27
	flat_store_dwordx4 v[1:2], v[3:6] offset:160
	s_nop 0
	;; [unrolled: 6-line block ×11, first 2 shown]
	v_mov_b32_e32 v3, s8
	v_mov_b32_e32 v4, s9
	;; [unrolled: 1-line block ×4, first 2 shown]
	flat_store_dwordx4 v[1:2], v[3:6]
	s_load_dwordx8 s[8:15], s[4:5], 0x108
	s_load_dwordx8 s[16:23], s[4:5], 0x128
	;; [unrolled: 1-line block ×7, first 2 shown]
	s_waitcnt lgkmcnt(0)
	v_mov_b32_e32 v3, s28
	v_mov_b32_e32 v7, s24
	;; [unrolled: 1-line block ×8, first 2 shown]
	s_load_dwordx8 s[24:31], s[4:5], 0x1a8
	flat_store_dwordx4 v[1:2], v[3:6] offset:496
	flat_store_dwordx4 v[1:2], v[7:10] offset:480
	v_mov_b32_e32 v3, s64
	v_mov_b32_e32 v4, s65
	;; [unrolled: 1-line block ×4, first 2 shown]
	flat_store_dwordx4 v[1:2], v[3:6] offset:464
	s_nop 0
	v_mov_b32_e32 v3, s60
	v_mov_b32_e32 v4, s61
	;; [unrolled: 1-line block ×4, first 2 shown]
	flat_store_dwordx4 v[1:2], v[3:6] offset:448
	s_waitcnt lgkmcnt(0)
	v_mov_b32_e32 v3, s28
	v_mov_b32_e32 v4, s29
	v_mov_b32_e32 v5, s30
	v_mov_b32_e32 v6, s31
	flat_store_dwordx4 v[1:2], v[3:6] offset:432
	s_nop 0
	v_mov_b32_e32 v3, s24
	v_mov_b32_e32 v4, s25
	v_mov_b32_e32 v5, s26
	v_mov_b32_e32 v6, s27
	flat_store_dwordx4 v[1:2], v[3:6] offset:416
	s_nop 0
	;; [unrolled: 6-line block ×11, first 2 shown]
	v_mov_b32_e32 v3, s8
	v_mov_b32_e32 v4, s9
	v_mov_b32_e32 v5, s10
	v_mov_b32_e32 v6, s11
	flat_store_dwordx4 v[1:2], v[3:6] offset:256
	s_load_dwordx8 s[8:15], s[4:5], 0x208
	s_load_dwordx8 s[16:23], s[4:5], 0x228
	;; [unrolled: 1-line block ×7, first 2 shown]
	s_waitcnt lgkmcnt(0)
	v_mov_b32_e32 v3, s28
	v_mov_b32_e32 v7, s24
	;; [unrolled: 1-line block ×8, first 2 shown]
	s_load_dwordx8 s[24:31], s[4:5], 0x2a8
	flat_store_dwordx4 v[1:2], v[3:6] offset:752
	flat_store_dwordx4 v[1:2], v[7:10] offset:736
	v_mov_b32_e32 v3, s64
	v_mov_b32_e32 v4, s65
	;; [unrolled: 1-line block ×4, first 2 shown]
	flat_store_dwordx4 v[1:2], v[3:6] offset:720
	s_nop 0
	v_mov_b32_e32 v3, s60
	v_mov_b32_e32 v4, s61
	;; [unrolled: 1-line block ×4, first 2 shown]
	flat_store_dwordx4 v[1:2], v[3:6] offset:704
	s_waitcnt lgkmcnt(0)
	v_mov_b32_e32 v3, s28
	v_mov_b32_e32 v4, s29
	v_mov_b32_e32 v5, s30
	v_mov_b32_e32 v6, s31
	flat_store_dwordx4 v[1:2], v[3:6] offset:688
	s_nop 0
	v_mov_b32_e32 v3, s24
	v_mov_b32_e32 v4, s25
	v_mov_b32_e32 v5, s26
	v_mov_b32_e32 v6, s27
	flat_store_dwordx4 v[1:2], v[3:6] offset:672
	s_nop 0
	;; [unrolled: 6-line block ×11, first 2 shown]
	v_mov_b32_e32 v3, s8
	v_mov_b32_e32 v4, s9
	;; [unrolled: 1-line block ×4, first 2 shown]
	flat_store_dwordx4 v[1:2], v[3:6] offset:512
	s_load_dwordx8 s[8:15], s[4:5], 0x308
	s_load_dwordx8 s[16:23], s[4:5], 0x328
	;; [unrolled: 1-line block ×7, first 2 shown]
	s_waitcnt lgkmcnt(0)
	v_mov_b32_e32 v3, s28
	v_mov_b32_e32 v7, s24
	;; [unrolled: 1-line block ×8, first 2 shown]
	s_load_dwordx8 s[24:31], s[4:5], 0x3a8
	flat_store_dwordx4 v[1:2], v[3:6] offset:1008
	flat_store_dwordx4 v[1:2], v[7:10] offset:992
	v_mov_b32_e32 v3, s64
	v_mov_b32_e32 v4, s65
	;; [unrolled: 1-line block ×4, first 2 shown]
	flat_store_dwordx4 v[1:2], v[3:6] offset:976
	s_nop 0
	v_mov_b32_e32 v3, s60
	v_mov_b32_e32 v4, s61
	;; [unrolled: 1-line block ×4, first 2 shown]
	flat_store_dwordx4 v[1:2], v[3:6] offset:960
	s_waitcnt lgkmcnt(0)
	v_mov_b32_e32 v3, s28
	v_mov_b32_e32 v4, s29
	v_mov_b32_e32 v5, s30
	v_mov_b32_e32 v6, s31
	flat_store_dwordx4 v[1:2], v[3:6] offset:944
	s_nop 0
	v_mov_b32_e32 v3, s24
	v_mov_b32_e32 v4, s25
	v_mov_b32_e32 v5, s26
	v_mov_b32_e32 v6, s27
	flat_store_dwordx4 v[1:2], v[3:6] offset:928
	s_nop 0
	;; [unrolled: 6-line block ×11, first 2 shown]
	v_mov_b32_e32 v3, s8
	v_mov_b32_e32 v4, s9
	v_mov_b32_e32 v5, s10
	v_mov_b32_e32 v6, s11
	flat_store_dwordx4 v[1:2], v[3:6] offset:768
	s_endpgm
	.section	.rodata,"a",@progbits
	.p2align	6, 0x0
	.amdhsa_kernel _ZN6thrust23THRUST_200600_302600_NS11hip_rocprim14__parallel_for6kernelILj256ENS1_10for_each_fINS0_6detail15normal_iteratorINS0_10device_ptrI11FixedVectorIiLj256EEEEEENS5_16wrapped_functionI24SetFixedVectorToConstantIiLj256EEvEEEEmLj1EEEvT0_T1_SI_
		.amdhsa_group_segment_fixed_size 0
		.amdhsa_private_segment_fixed_size 0
		.amdhsa_kernarg_size 1048
		.amdhsa_user_sgpr_count 6
		.amdhsa_user_sgpr_private_segment_buffer 1
		.amdhsa_user_sgpr_dispatch_ptr 0
		.amdhsa_user_sgpr_queue_ptr 0
		.amdhsa_user_sgpr_kernarg_segment_ptr 1
		.amdhsa_user_sgpr_dispatch_id 0
		.amdhsa_user_sgpr_flat_scratch_init 0
		.amdhsa_user_sgpr_private_segment_size 0
		.amdhsa_uses_dynamic_stack 0
		.amdhsa_system_sgpr_private_segment_wavefront_offset 0
		.amdhsa_system_sgpr_workgroup_id_x 1
		.amdhsa_system_sgpr_workgroup_id_y 0
		.amdhsa_system_sgpr_workgroup_id_z 0
		.amdhsa_system_sgpr_workgroup_info 0
		.amdhsa_system_vgpr_workitem_id 0
		.amdhsa_next_free_vgpr 11
		.amdhsa_next_free_sgpr 68
		.amdhsa_reserve_vcc 1
		.amdhsa_reserve_flat_scratch 0
		.amdhsa_float_round_mode_32 0
		.amdhsa_float_round_mode_16_64 0
		.amdhsa_float_denorm_mode_32 3
		.amdhsa_float_denorm_mode_16_64 3
		.amdhsa_dx10_clamp 1
		.amdhsa_ieee_mode 1
		.amdhsa_fp16_overflow 0
		.amdhsa_exception_fp_ieee_invalid_op 0
		.amdhsa_exception_fp_denorm_src 0
		.amdhsa_exception_fp_ieee_div_zero 0
		.amdhsa_exception_fp_ieee_overflow 0
		.amdhsa_exception_fp_ieee_underflow 0
		.amdhsa_exception_fp_ieee_inexact 0
		.amdhsa_exception_int_div_zero 0
	.end_amdhsa_kernel
	.section	.text._ZN6thrust23THRUST_200600_302600_NS11hip_rocprim14__parallel_for6kernelILj256ENS1_10for_each_fINS0_6detail15normal_iteratorINS0_10device_ptrI11FixedVectorIiLj256EEEEEENS5_16wrapped_functionI24SetFixedVectorToConstantIiLj256EEvEEEEmLj1EEEvT0_T1_SI_,"axG",@progbits,_ZN6thrust23THRUST_200600_302600_NS11hip_rocprim14__parallel_for6kernelILj256ENS1_10for_each_fINS0_6detail15normal_iteratorINS0_10device_ptrI11FixedVectorIiLj256EEEEEENS5_16wrapped_functionI24SetFixedVectorToConstantIiLj256EEvEEEEmLj1EEEvT0_T1_SI_,comdat
.Lfunc_end65:
	.size	_ZN6thrust23THRUST_200600_302600_NS11hip_rocprim14__parallel_for6kernelILj256ENS1_10for_each_fINS0_6detail15normal_iteratorINS0_10device_ptrI11FixedVectorIiLj256EEEEEENS5_16wrapped_functionI24SetFixedVectorToConstantIiLj256EEvEEEEmLj1EEEvT0_T1_SI_, .Lfunc_end65-_ZN6thrust23THRUST_200600_302600_NS11hip_rocprim14__parallel_for6kernelILj256ENS1_10for_each_fINS0_6detail15normal_iteratorINS0_10device_ptrI11FixedVectorIiLj256EEEEEENS5_16wrapped_functionI24SetFixedVectorToConstantIiLj256EEvEEEEmLj1EEEvT0_T1_SI_
                                        ; -- End function
	.set _ZN6thrust23THRUST_200600_302600_NS11hip_rocprim14__parallel_for6kernelILj256ENS1_10for_each_fINS0_6detail15normal_iteratorINS0_10device_ptrI11FixedVectorIiLj256EEEEEENS5_16wrapped_functionI24SetFixedVectorToConstantIiLj256EEvEEEEmLj1EEEvT0_T1_SI_.num_vgpr, 11
	.set _ZN6thrust23THRUST_200600_302600_NS11hip_rocprim14__parallel_for6kernelILj256ENS1_10for_each_fINS0_6detail15normal_iteratorINS0_10device_ptrI11FixedVectorIiLj256EEEEEENS5_16wrapped_functionI24SetFixedVectorToConstantIiLj256EEvEEEEmLj1EEEvT0_T1_SI_.num_agpr, 0
	.set _ZN6thrust23THRUST_200600_302600_NS11hip_rocprim14__parallel_for6kernelILj256ENS1_10for_each_fINS0_6detail15normal_iteratorINS0_10device_ptrI11FixedVectorIiLj256EEEEEENS5_16wrapped_functionI24SetFixedVectorToConstantIiLj256EEvEEEEmLj1EEEvT0_T1_SI_.numbered_sgpr, 68
	.set _ZN6thrust23THRUST_200600_302600_NS11hip_rocprim14__parallel_for6kernelILj256ENS1_10for_each_fINS0_6detail15normal_iteratorINS0_10device_ptrI11FixedVectorIiLj256EEEEEENS5_16wrapped_functionI24SetFixedVectorToConstantIiLj256EEvEEEEmLj1EEEvT0_T1_SI_.num_named_barrier, 0
	.set _ZN6thrust23THRUST_200600_302600_NS11hip_rocprim14__parallel_for6kernelILj256ENS1_10for_each_fINS0_6detail15normal_iteratorINS0_10device_ptrI11FixedVectorIiLj256EEEEEENS5_16wrapped_functionI24SetFixedVectorToConstantIiLj256EEvEEEEmLj1EEEvT0_T1_SI_.private_seg_size, 0
	.set _ZN6thrust23THRUST_200600_302600_NS11hip_rocprim14__parallel_for6kernelILj256ENS1_10for_each_fINS0_6detail15normal_iteratorINS0_10device_ptrI11FixedVectorIiLj256EEEEEENS5_16wrapped_functionI24SetFixedVectorToConstantIiLj256EEvEEEEmLj1EEEvT0_T1_SI_.uses_vcc, 1
	.set _ZN6thrust23THRUST_200600_302600_NS11hip_rocprim14__parallel_for6kernelILj256ENS1_10for_each_fINS0_6detail15normal_iteratorINS0_10device_ptrI11FixedVectorIiLj256EEEEEENS5_16wrapped_functionI24SetFixedVectorToConstantIiLj256EEvEEEEmLj1EEEvT0_T1_SI_.uses_flat_scratch, 0
	.set _ZN6thrust23THRUST_200600_302600_NS11hip_rocprim14__parallel_for6kernelILj256ENS1_10for_each_fINS0_6detail15normal_iteratorINS0_10device_ptrI11FixedVectorIiLj256EEEEEENS5_16wrapped_functionI24SetFixedVectorToConstantIiLj256EEvEEEEmLj1EEEvT0_T1_SI_.has_dyn_sized_stack, 0
	.set _ZN6thrust23THRUST_200600_302600_NS11hip_rocprim14__parallel_for6kernelILj256ENS1_10for_each_fINS0_6detail15normal_iteratorINS0_10device_ptrI11FixedVectorIiLj256EEEEEENS5_16wrapped_functionI24SetFixedVectorToConstantIiLj256EEvEEEEmLj1EEEvT0_T1_SI_.has_recursion, 0
	.set _ZN6thrust23THRUST_200600_302600_NS11hip_rocprim14__parallel_for6kernelILj256ENS1_10for_each_fINS0_6detail15normal_iteratorINS0_10device_ptrI11FixedVectorIiLj256EEEEEENS5_16wrapped_functionI24SetFixedVectorToConstantIiLj256EEvEEEEmLj1EEEvT0_T1_SI_.has_indirect_call, 0
	.section	.AMDGPU.csdata,"",@progbits
; Kernel info:
; codeLenInByte = 2196
; TotalNumSgprs: 72
; NumVgprs: 11
; ScratchSize: 0
; MemoryBound: 0
; FloatMode: 240
; IeeeMode: 1
; LDSByteSize: 0 bytes/workgroup (compile time only)
; SGPRBlocks: 8
; VGPRBlocks: 2
; NumSGPRsForWavesPerEU: 72
; NumVGPRsForWavesPerEU: 11
; Occupancy: 10
; WaveLimiterHint : 1
; COMPUTE_PGM_RSRC2:SCRATCH_EN: 0
; COMPUTE_PGM_RSRC2:USER_SGPR: 6
; COMPUTE_PGM_RSRC2:TRAP_HANDLER: 0
; COMPUTE_PGM_RSRC2:TGID_X_EN: 1
; COMPUTE_PGM_RSRC2:TGID_Y_EN: 0
; COMPUTE_PGM_RSRC2:TGID_Z_EN: 0
; COMPUTE_PGM_RSRC2:TIDIG_COMP_CNT: 0
	.section	.text._ZN6thrust23THRUST_200600_302600_NS11hip_rocprim14__parallel_for6kernelILj256ENS1_10for_each_fINS0_6detail15normal_iteratorINS0_10device_ptrI11FixedVectorIiLj512EEEEEENS5_16wrapped_functionI24SetFixedVectorToConstantIiLj512EEvEEEEmLj1EEEvT0_T1_SI_,"axG",@progbits,_ZN6thrust23THRUST_200600_302600_NS11hip_rocprim14__parallel_for6kernelILj256ENS1_10for_each_fINS0_6detail15normal_iteratorINS0_10device_ptrI11FixedVectorIiLj512EEEEEENS5_16wrapped_functionI24SetFixedVectorToConstantIiLj512EEvEEEEmLj1EEEvT0_T1_SI_,comdat
	.protected	_ZN6thrust23THRUST_200600_302600_NS11hip_rocprim14__parallel_for6kernelILj256ENS1_10for_each_fINS0_6detail15normal_iteratorINS0_10device_ptrI11FixedVectorIiLj512EEEEEENS5_16wrapped_functionI24SetFixedVectorToConstantIiLj512EEvEEEEmLj1EEEvT0_T1_SI_ ; -- Begin function _ZN6thrust23THRUST_200600_302600_NS11hip_rocprim14__parallel_for6kernelILj256ENS1_10for_each_fINS0_6detail15normal_iteratorINS0_10device_ptrI11FixedVectorIiLj512EEEEEENS5_16wrapped_functionI24SetFixedVectorToConstantIiLj512EEvEEEEmLj1EEEvT0_T1_SI_
	.globl	_ZN6thrust23THRUST_200600_302600_NS11hip_rocprim14__parallel_for6kernelILj256ENS1_10for_each_fINS0_6detail15normal_iteratorINS0_10device_ptrI11FixedVectorIiLj512EEEEEENS5_16wrapped_functionI24SetFixedVectorToConstantIiLj512EEvEEEEmLj1EEEvT0_T1_SI_
	.p2align	8
	.type	_ZN6thrust23THRUST_200600_302600_NS11hip_rocprim14__parallel_for6kernelILj256ENS1_10for_each_fINS0_6detail15normal_iteratorINS0_10device_ptrI11FixedVectorIiLj512EEEEEENS5_16wrapped_functionI24SetFixedVectorToConstantIiLj512EEvEEEEmLj1EEEvT0_T1_SI_,@function
_ZN6thrust23THRUST_200600_302600_NS11hip_rocprim14__parallel_for6kernelILj256ENS1_10for_each_fINS0_6detail15normal_iteratorINS0_10device_ptrI11FixedVectorIiLj512EEEEEENS5_16wrapped_functionI24SetFixedVectorToConstantIiLj512EEvEEEEmLj1EEEvT0_T1_SI_: ; @_ZN6thrust23THRUST_200600_302600_NS11hip_rocprim14__parallel_for6kernelILj256ENS1_10for_each_fINS0_6detail15normal_iteratorINS0_10device_ptrI11FixedVectorIiLj512EEEEEENS5_16wrapped_functionI24SetFixedVectorToConstantIiLj512EEvEEEEmLj1EEEvT0_T1_SI_
; %bb.0:
	s_load_dwordx4 s[8:11], s[4:5], 0x808
	s_load_dwordx2 s[0:1], s[4:5], 0x0
	s_lshl_b32 s2, s6, 8
	v_mov_b32_e32 v1, 0xff
	v_mov_b32_e32 v2, 0
	s_waitcnt lgkmcnt(0)
	s_add_u32 s6, s10, s2
	s_addc_u32 s7, s11, 0
	s_sub_u32 s2, s8, s6
	s_subb_u32 s3, s9, s7
	v_cmp_gt_u64_e32 vcc, s[2:3], v[1:2]
	s_cbranch_vccnz .LBB66_4
; %bb.1:
	v_cmp_gt_u32_e32 vcc, s2, v0
	s_mov_b64 s[8:9], 0
	s_mov_b64 s[2:3], 0
                                        ; implicit-def: $vgpr1_vgpr2
	s_and_saveexec_b64 s[10:11], vcc
; %bb.2:
	s_lshl_b64 s[12:13], s[6:7], 11
	s_add_u32 s12, s0, s12
	s_addc_u32 s13, s1, s13
	v_lshlrev_b32_e32 v1, 11, v0
	v_mov_b32_e32 v2, s13
	v_add_co_u32_e32 v1, vcc, s12, v1
	s_mov_b64 s[2:3], exec
	v_addc_co_u32_e32 v2, vcc, 0, v2, vcc
; %bb.3:
	s_or_b64 exec, exec, s[10:11]
	s_and_b64 vcc, exec, s[8:9]
	s_cbranch_vccnz .LBB66_5
	s_branch .LBB66_6
.LBB66_4:
	s_mov_b64 s[2:3], 0
                                        ; implicit-def: $vgpr1_vgpr2
	s_cbranch_execz .LBB66_6
.LBB66_5:
	s_lshl_b64 s[6:7], s[6:7], 11
	s_add_u32 s0, s0, s6
	s_addc_u32 s1, s1, s7
	v_lshlrev_b32_e32 v0, 11, v0
	v_mov_b32_e32 v2, s1
	v_add_co_u32_e32 v1, vcc, s0, v0
	v_addc_co_u32_e32 v2, vcc, 0, v2, vcc
	s_or_b64 s[2:3], s[2:3], exec
.LBB66_6:
	s_and_saveexec_b64 s[0:1], s[2:3]
	s_cbranch_execz .LBB66_9
; %bb.7:
	v_mov_b32_e32 v3, 0x800
	v_mov_b32_e32 v4, 0
	s_mov_b64 s[0:1], 0
.LBB66_8:                               ; =>This Inner Loop Header: Depth=1
	s_add_u32 s2, s4, s0
	s_addc_u32 s3, s5, s1
	s_load_dwordx16 s[52:67], s[2:3], 0xc8
	s_load_dwordx16 s[8:23], s[2:3], 0x8
	;; [unrolled: 1-line block ×3, first 2 shown]
	v_mov_b32_e32 v0, s1
	v_add_co_u32_e32 v21, vcc, s0, v1
	s_waitcnt lgkmcnt(0)
	v_mov_b32_e32 v5, s64
	v_mov_b32_e32 v6, s65
	;; [unrolled: 1-line block ×16, first 2 shown]
	s_load_dwordx16 s[52:67], s[2:3], 0x88
	v_addc_co_u32_e32 v22, vcc, v2, v0, vcc
	s_add_u32 s0, s0, 0x100
	flat_store_dwordx4 v[21:22], v[5:8] offset:240
	s_addc_u32 s1, s1, 0
	s_waitcnt lgkmcnt(0)
	v_mov_b32_e32 v5, s64
	v_mov_b32_e32 v6, s65
	;; [unrolled: 1-line block ×4, first 2 shown]
	v_cmp_lt_u64_e32 vcc, s[0:1], v[3:4]
	flat_store_dwordx4 v[21:22], v[9:12] offset:224
	flat_store_dwordx4 v[21:22], v[13:16] offset:208
	v_mov_b32_e32 v9, s60
	v_mov_b32_e32 v10, s61
	v_mov_b32_e32 v11, s62
	v_mov_b32_e32 v12, s63
	v_mov_b32_e32 v13, s56
	v_mov_b32_e32 v14, s57
	v_mov_b32_e32 v15, s58
	v_mov_b32_e32 v16, s59
	flat_store_dwordx4 v[21:22], v[5:8] offset:176
	flat_store_dwordx4 v[21:22], v[9:12] offset:160
	v_mov_b32_e32 v5, s52
	v_mov_b32_e32 v6, s53
	v_mov_b32_e32 v7, s54
	v_mov_b32_e32 v8, s55
	v_mov_b32_e32 v9, s48
	v_mov_b32_e32 v10, s49
	v_mov_b32_e32 v11, s50
	v_mov_b32_e32 v12, s51
	;; [unrolled: 10-line block ×3, first 2 shown]
	s_and_b64 vcc, exec, vcc
	flat_store_dwordx4 v[21:22], v[9:12] offset:112
	flat_store_dwordx4 v[21:22], v[13:16] offset:96
	v_mov_b32_e32 v9, s36
	v_mov_b32_e32 v10, s37
	;; [unrolled: 1-line block ×8, first 2 shown]
	flat_store_dwordx4 v[21:22], v[5:8] offset:80
	flat_store_dwordx4 v[21:22], v[17:20] offset:192
	v_mov_b32_e32 v5, s16
	v_mov_b32_e32 v6, s17
	;; [unrolled: 1-line block ×4, first 2 shown]
	flat_store_dwordx4 v[21:22], v[9:12] offset:64
	flat_store_dwordx4 v[21:22], v[13:16] offset:48
	v_mov_b32_e32 v9, s12
	v_mov_b32_e32 v10, s13
	;; [unrolled: 1-line block ×8, first 2 shown]
	flat_store_dwordx4 v[21:22], v[5:8] offset:32
	flat_store_dwordx4 v[21:22], v[9:12] offset:16
	flat_store_dwordx4 v[21:22], v[13:16]
	s_cbranch_vccnz .LBB66_8
.LBB66_9:
	s_endpgm
	.section	.rodata,"a",@progbits
	.p2align	6, 0x0
	.amdhsa_kernel _ZN6thrust23THRUST_200600_302600_NS11hip_rocprim14__parallel_for6kernelILj256ENS1_10for_each_fINS0_6detail15normal_iteratorINS0_10device_ptrI11FixedVectorIiLj512EEEEEENS5_16wrapped_functionI24SetFixedVectorToConstantIiLj512EEvEEEEmLj1EEEvT0_T1_SI_
		.amdhsa_group_segment_fixed_size 0
		.amdhsa_private_segment_fixed_size 0
		.amdhsa_kernarg_size 2072
		.amdhsa_user_sgpr_count 6
		.amdhsa_user_sgpr_private_segment_buffer 1
		.amdhsa_user_sgpr_dispatch_ptr 0
		.amdhsa_user_sgpr_queue_ptr 0
		.amdhsa_user_sgpr_kernarg_segment_ptr 1
		.amdhsa_user_sgpr_dispatch_id 0
		.amdhsa_user_sgpr_flat_scratch_init 0
		.amdhsa_user_sgpr_private_segment_size 0
		.amdhsa_uses_dynamic_stack 0
		.amdhsa_system_sgpr_private_segment_wavefront_offset 0
		.amdhsa_system_sgpr_workgroup_id_x 1
		.amdhsa_system_sgpr_workgroup_id_y 0
		.amdhsa_system_sgpr_workgroup_id_z 0
		.amdhsa_system_sgpr_workgroup_info 0
		.amdhsa_system_vgpr_workitem_id 0
		.amdhsa_next_free_vgpr 23
		.amdhsa_next_free_sgpr 68
		.amdhsa_reserve_vcc 1
		.amdhsa_reserve_flat_scratch 0
		.amdhsa_float_round_mode_32 0
		.amdhsa_float_round_mode_16_64 0
		.amdhsa_float_denorm_mode_32 3
		.amdhsa_float_denorm_mode_16_64 3
		.amdhsa_dx10_clamp 1
		.amdhsa_ieee_mode 1
		.amdhsa_fp16_overflow 0
		.amdhsa_exception_fp_ieee_invalid_op 0
		.amdhsa_exception_fp_denorm_src 0
		.amdhsa_exception_fp_ieee_div_zero 0
		.amdhsa_exception_fp_ieee_overflow 0
		.amdhsa_exception_fp_ieee_underflow 0
		.amdhsa_exception_fp_ieee_inexact 0
		.amdhsa_exception_int_div_zero 0
	.end_amdhsa_kernel
	.section	.text._ZN6thrust23THRUST_200600_302600_NS11hip_rocprim14__parallel_for6kernelILj256ENS1_10for_each_fINS0_6detail15normal_iteratorINS0_10device_ptrI11FixedVectorIiLj512EEEEEENS5_16wrapped_functionI24SetFixedVectorToConstantIiLj512EEvEEEEmLj1EEEvT0_T1_SI_,"axG",@progbits,_ZN6thrust23THRUST_200600_302600_NS11hip_rocprim14__parallel_for6kernelILj256ENS1_10for_each_fINS0_6detail15normal_iteratorINS0_10device_ptrI11FixedVectorIiLj512EEEEEENS5_16wrapped_functionI24SetFixedVectorToConstantIiLj512EEvEEEEmLj1EEEvT0_T1_SI_,comdat
.Lfunc_end66:
	.size	_ZN6thrust23THRUST_200600_302600_NS11hip_rocprim14__parallel_for6kernelILj256ENS1_10for_each_fINS0_6detail15normal_iteratorINS0_10device_ptrI11FixedVectorIiLj512EEEEEENS5_16wrapped_functionI24SetFixedVectorToConstantIiLj512EEvEEEEmLj1EEEvT0_T1_SI_, .Lfunc_end66-_ZN6thrust23THRUST_200600_302600_NS11hip_rocprim14__parallel_for6kernelILj256ENS1_10for_each_fINS0_6detail15normal_iteratorINS0_10device_ptrI11FixedVectorIiLj512EEEEEENS5_16wrapped_functionI24SetFixedVectorToConstantIiLj512EEvEEEEmLj1EEEvT0_T1_SI_
                                        ; -- End function
	.set _ZN6thrust23THRUST_200600_302600_NS11hip_rocprim14__parallel_for6kernelILj256ENS1_10for_each_fINS0_6detail15normal_iteratorINS0_10device_ptrI11FixedVectorIiLj512EEEEEENS5_16wrapped_functionI24SetFixedVectorToConstantIiLj512EEvEEEEmLj1EEEvT0_T1_SI_.num_vgpr, 23
	.set _ZN6thrust23THRUST_200600_302600_NS11hip_rocprim14__parallel_for6kernelILj256ENS1_10for_each_fINS0_6detail15normal_iteratorINS0_10device_ptrI11FixedVectorIiLj512EEEEEENS5_16wrapped_functionI24SetFixedVectorToConstantIiLj512EEvEEEEmLj1EEEvT0_T1_SI_.num_agpr, 0
	.set _ZN6thrust23THRUST_200600_302600_NS11hip_rocprim14__parallel_for6kernelILj256ENS1_10for_each_fINS0_6detail15normal_iteratorINS0_10device_ptrI11FixedVectorIiLj512EEEEEENS5_16wrapped_functionI24SetFixedVectorToConstantIiLj512EEvEEEEmLj1EEEvT0_T1_SI_.numbered_sgpr, 68
	.set _ZN6thrust23THRUST_200600_302600_NS11hip_rocprim14__parallel_for6kernelILj256ENS1_10for_each_fINS0_6detail15normal_iteratorINS0_10device_ptrI11FixedVectorIiLj512EEEEEENS5_16wrapped_functionI24SetFixedVectorToConstantIiLj512EEvEEEEmLj1EEEvT0_T1_SI_.num_named_barrier, 0
	.set _ZN6thrust23THRUST_200600_302600_NS11hip_rocprim14__parallel_for6kernelILj256ENS1_10for_each_fINS0_6detail15normal_iteratorINS0_10device_ptrI11FixedVectorIiLj512EEEEEENS5_16wrapped_functionI24SetFixedVectorToConstantIiLj512EEvEEEEmLj1EEEvT0_T1_SI_.private_seg_size, 0
	.set _ZN6thrust23THRUST_200600_302600_NS11hip_rocprim14__parallel_for6kernelILj256ENS1_10for_each_fINS0_6detail15normal_iteratorINS0_10device_ptrI11FixedVectorIiLj512EEEEEENS5_16wrapped_functionI24SetFixedVectorToConstantIiLj512EEvEEEEmLj1EEEvT0_T1_SI_.uses_vcc, 1
	.set _ZN6thrust23THRUST_200600_302600_NS11hip_rocprim14__parallel_for6kernelILj256ENS1_10for_each_fINS0_6detail15normal_iteratorINS0_10device_ptrI11FixedVectorIiLj512EEEEEENS5_16wrapped_functionI24SetFixedVectorToConstantIiLj512EEvEEEEmLj1EEEvT0_T1_SI_.uses_flat_scratch, 0
	.set _ZN6thrust23THRUST_200600_302600_NS11hip_rocprim14__parallel_for6kernelILj256ENS1_10for_each_fINS0_6detail15normal_iteratorINS0_10device_ptrI11FixedVectorIiLj512EEEEEENS5_16wrapped_functionI24SetFixedVectorToConstantIiLj512EEvEEEEmLj1EEEvT0_T1_SI_.has_dyn_sized_stack, 0
	.set _ZN6thrust23THRUST_200600_302600_NS11hip_rocprim14__parallel_for6kernelILj256ENS1_10for_each_fINS0_6detail15normal_iteratorINS0_10device_ptrI11FixedVectorIiLj512EEEEEENS5_16wrapped_functionI24SetFixedVectorToConstantIiLj512EEvEEEEmLj1EEEvT0_T1_SI_.has_recursion, 0
	.set _ZN6thrust23THRUST_200600_302600_NS11hip_rocprim14__parallel_for6kernelILj256ENS1_10for_each_fINS0_6detail15normal_iteratorINS0_10device_ptrI11FixedVectorIiLj512EEEEEENS5_16wrapped_functionI24SetFixedVectorToConstantIiLj512EEvEEEEmLj1EEEvT0_T1_SI_.has_indirect_call, 0
	.section	.AMDGPU.csdata,"",@progbits
; Kernel info:
; codeLenInByte = 660
; TotalNumSgprs: 72
; NumVgprs: 23
; ScratchSize: 0
; MemoryBound: 1
; FloatMode: 240
; IeeeMode: 1
; LDSByteSize: 0 bytes/workgroup (compile time only)
; SGPRBlocks: 8
; VGPRBlocks: 5
; NumSGPRsForWavesPerEU: 72
; NumVGPRsForWavesPerEU: 23
; Occupancy: 10
; WaveLimiterHint : 1
; COMPUTE_PGM_RSRC2:SCRATCH_EN: 0
; COMPUTE_PGM_RSRC2:USER_SGPR: 6
; COMPUTE_PGM_RSRC2:TRAP_HANDLER: 0
; COMPUTE_PGM_RSRC2:TGID_X_EN: 1
; COMPUTE_PGM_RSRC2:TGID_Y_EN: 0
; COMPUTE_PGM_RSRC2:TGID_Z_EN: 0
; COMPUTE_PGM_RSRC2:TIDIG_COMP_CNT: 0
	.section	.text._ZN6thrust23THRUST_200600_302600_NS11hip_rocprim14__parallel_for6kernelILj256ENS1_10for_each_fINS0_6detail15normal_iteratorINS0_10device_ptrI11FixedVectorIiLj1024EEEEEENS5_16wrapped_functionI24SetFixedVectorToConstantIiLj1024EEvEEEEmLj1EEEvT0_T1_SI_,"axG",@progbits,_ZN6thrust23THRUST_200600_302600_NS11hip_rocprim14__parallel_for6kernelILj256ENS1_10for_each_fINS0_6detail15normal_iteratorINS0_10device_ptrI11FixedVectorIiLj1024EEEEEENS5_16wrapped_functionI24SetFixedVectorToConstantIiLj1024EEvEEEEmLj1EEEvT0_T1_SI_,comdat
	.protected	_ZN6thrust23THRUST_200600_302600_NS11hip_rocprim14__parallel_for6kernelILj256ENS1_10for_each_fINS0_6detail15normal_iteratorINS0_10device_ptrI11FixedVectorIiLj1024EEEEEENS5_16wrapped_functionI24SetFixedVectorToConstantIiLj1024EEvEEEEmLj1EEEvT0_T1_SI_ ; -- Begin function _ZN6thrust23THRUST_200600_302600_NS11hip_rocprim14__parallel_for6kernelILj256ENS1_10for_each_fINS0_6detail15normal_iteratorINS0_10device_ptrI11FixedVectorIiLj1024EEEEEENS5_16wrapped_functionI24SetFixedVectorToConstantIiLj1024EEvEEEEmLj1EEEvT0_T1_SI_
	.globl	_ZN6thrust23THRUST_200600_302600_NS11hip_rocprim14__parallel_for6kernelILj256ENS1_10for_each_fINS0_6detail15normal_iteratorINS0_10device_ptrI11FixedVectorIiLj1024EEEEEENS5_16wrapped_functionI24SetFixedVectorToConstantIiLj1024EEvEEEEmLj1EEEvT0_T1_SI_
	.p2align	8
	.type	_ZN6thrust23THRUST_200600_302600_NS11hip_rocprim14__parallel_for6kernelILj256ENS1_10for_each_fINS0_6detail15normal_iteratorINS0_10device_ptrI11FixedVectorIiLj1024EEEEEENS5_16wrapped_functionI24SetFixedVectorToConstantIiLj1024EEvEEEEmLj1EEEvT0_T1_SI_,@function
_ZN6thrust23THRUST_200600_302600_NS11hip_rocprim14__parallel_for6kernelILj256ENS1_10for_each_fINS0_6detail15normal_iteratorINS0_10device_ptrI11FixedVectorIiLj1024EEEEEENS5_16wrapped_functionI24SetFixedVectorToConstantIiLj1024EEvEEEEmLj1EEEvT0_T1_SI_: ; @_ZN6thrust23THRUST_200600_302600_NS11hip_rocprim14__parallel_for6kernelILj256ENS1_10for_each_fINS0_6detail15normal_iteratorINS0_10device_ptrI11FixedVectorIiLj1024EEEEEENS5_16wrapped_functionI24SetFixedVectorToConstantIiLj1024EEvEEEEmLj1EEEvT0_T1_SI_
; %bb.0:
	s_load_dwordx4 s[8:11], s[4:5], 0x1008
	s_load_dwordx2 s[0:1], s[4:5], 0x0
	s_lshl_b32 s2, s6, 8
	v_mov_b32_e32 v1, 0xff
	v_mov_b32_e32 v2, 0
	s_waitcnt lgkmcnt(0)
	s_add_u32 s6, s10, s2
	s_addc_u32 s7, s11, 0
	s_sub_u32 s2, s8, s6
	s_subb_u32 s3, s9, s7
	v_cmp_gt_u64_e32 vcc, s[2:3], v[1:2]
	s_cbranch_vccnz .LBB67_4
; %bb.1:
	v_cmp_gt_u32_e32 vcc, s2, v0
	s_mov_b64 s[8:9], 0
	s_mov_b64 s[2:3], 0
                                        ; implicit-def: $vgpr1_vgpr2
	s_and_saveexec_b64 s[10:11], vcc
; %bb.2:
	s_lshl_b64 s[12:13], s[6:7], 12
	s_add_u32 s12, s0, s12
	s_addc_u32 s13, s1, s13
	v_lshlrev_b32_e32 v1, 12, v0
	v_mov_b32_e32 v2, s13
	v_add_co_u32_e32 v1, vcc, s12, v1
	s_mov_b64 s[2:3], exec
	v_addc_co_u32_e32 v2, vcc, 0, v2, vcc
; %bb.3:
	s_or_b64 exec, exec, s[10:11]
	s_and_b64 vcc, exec, s[8:9]
	s_cbranch_vccnz .LBB67_5
	s_branch .LBB67_6
.LBB67_4:
	s_mov_b64 s[2:3], 0
                                        ; implicit-def: $vgpr1_vgpr2
	s_cbranch_execz .LBB67_6
.LBB67_5:
	s_lshl_b64 s[6:7], s[6:7], 12
	s_add_u32 s0, s0, s6
	s_addc_u32 s1, s1, s7
	v_lshlrev_b32_e32 v0, 12, v0
	v_mov_b32_e32 v2, s1
	v_add_co_u32_e32 v1, vcc, s0, v0
	v_addc_co_u32_e32 v2, vcc, 0, v2, vcc
	s_or_b64 s[2:3], s[2:3], exec
.LBB67_6:
	s_and_saveexec_b64 s[0:1], s[2:3]
	s_cbranch_execz .LBB67_9
; %bb.7:
	v_mov_b32_e32 v3, 0x1000
	v_mov_b32_e32 v4, 0
	s_mov_b64 s[0:1], 0
.LBB67_8:                               ; =>This Inner Loop Header: Depth=1
	s_add_u32 s2, s4, s0
	s_addc_u32 s3, s5, s1
	s_load_dwordx16 s[52:67], s[2:3], 0xc8
	s_load_dwordx16 s[8:23], s[2:3], 0x8
	;; [unrolled: 1-line block ×3, first 2 shown]
	v_mov_b32_e32 v0, s1
	v_add_co_u32_e32 v21, vcc, s0, v1
	s_waitcnt lgkmcnt(0)
	v_mov_b32_e32 v5, s64
	v_mov_b32_e32 v6, s65
	;; [unrolled: 1-line block ×16, first 2 shown]
	s_load_dwordx16 s[52:67], s[2:3], 0x88
	v_addc_co_u32_e32 v22, vcc, v2, v0, vcc
	s_add_u32 s0, s0, 0x100
	flat_store_dwordx4 v[21:22], v[5:8] offset:240
	s_addc_u32 s1, s1, 0
	s_waitcnt lgkmcnt(0)
	v_mov_b32_e32 v5, s64
	v_mov_b32_e32 v6, s65
	;; [unrolled: 1-line block ×4, first 2 shown]
	v_cmp_lt_u64_e32 vcc, s[0:1], v[3:4]
	flat_store_dwordx4 v[21:22], v[9:12] offset:224
	flat_store_dwordx4 v[21:22], v[13:16] offset:208
	v_mov_b32_e32 v9, s60
	v_mov_b32_e32 v10, s61
	v_mov_b32_e32 v11, s62
	v_mov_b32_e32 v12, s63
	v_mov_b32_e32 v13, s56
	v_mov_b32_e32 v14, s57
	v_mov_b32_e32 v15, s58
	v_mov_b32_e32 v16, s59
	flat_store_dwordx4 v[21:22], v[5:8] offset:176
	flat_store_dwordx4 v[21:22], v[9:12] offset:160
	v_mov_b32_e32 v5, s52
	v_mov_b32_e32 v6, s53
	v_mov_b32_e32 v7, s54
	v_mov_b32_e32 v8, s55
	v_mov_b32_e32 v9, s48
	v_mov_b32_e32 v10, s49
	v_mov_b32_e32 v11, s50
	v_mov_b32_e32 v12, s51
	;; [unrolled: 10-line block ×3, first 2 shown]
	s_and_b64 vcc, exec, vcc
	flat_store_dwordx4 v[21:22], v[9:12] offset:112
	flat_store_dwordx4 v[21:22], v[13:16] offset:96
	v_mov_b32_e32 v9, s36
	v_mov_b32_e32 v10, s37
	;; [unrolled: 1-line block ×8, first 2 shown]
	flat_store_dwordx4 v[21:22], v[5:8] offset:80
	flat_store_dwordx4 v[21:22], v[17:20] offset:192
	v_mov_b32_e32 v5, s16
	v_mov_b32_e32 v6, s17
	;; [unrolled: 1-line block ×4, first 2 shown]
	flat_store_dwordx4 v[21:22], v[9:12] offset:64
	flat_store_dwordx4 v[21:22], v[13:16] offset:48
	v_mov_b32_e32 v9, s12
	v_mov_b32_e32 v10, s13
	;; [unrolled: 1-line block ×8, first 2 shown]
	flat_store_dwordx4 v[21:22], v[5:8] offset:32
	flat_store_dwordx4 v[21:22], v[9:12] offset:16
	flat_store_dwordx4 v[21:22], v[13:16]
	s_cbranch_vccnz .LBB67_8
.LBB67_9:
	s_endpgm
	.section	.rodata,"a",@progbits
	.p2align	6, 0x0
	.amdhsa_kernel _ZN6thrust23THRUST_200600_302600_NS11hip_rocprim14__parallel_for6kernelILj256ENS1_10for_each_fINS0_6detail15normal_iteratorINS0_10device_ptrI11FixedVectorIiLj1024EEEEEENS5_16wrapped_functionI24SetFixedVectorToConstantIiLj1024EEvEEEEmLj1EEEvT0_T1_SI_
		.amdhsa_group_segment_fixed_size 0
		.amdhsa_private_segment_fixed_size 0
		.amdhsa_kernarg_size 4120
		.amdhsa_user_sgpr_count 6
		.amdhsa_user_sgpr_private_segment_buffer 1
		.amdhsa_user_sgpr_dispatch_ptr 0
		.amdhsa_user_sgpr_queue_ptr 0
		.amdhsa_user_sgpr_kernarg_segment_ptr 1
		.amdhsa_user_sgpr_dispatch_id 0
		.amdhsa_user_sgpr_flat_scratch_init 0
		.amdhsa_user_sgpr_private_segment_size 0
		.amdhsa_uses_dynamic_stack 0
		.amdhsa_system_sgpr_private_segment_wavefront_offset 0
		.amdhsa_system_sgpr_workgroup_id_x 1
		.amdhsa_system_sgpr_workgroup_id_y 0
		.amdhsa_system_sgpr_workgroup_id_z 0
		.amdhsa_system_sgpr_workgroup_info 0
		.amdhsa_system_vgpr_workitem_id 0
		.amdhsa_next_free_vgpr 23
		.amdhsa_next_free_sgpr 68
		.amdhsa_reserve_vcc 1
		.amdhsa_reserve_flat_scratch 0
		.amdhsa_float_round_mode_32 0
		.amdhsa_float_round_mode_16_64 0
		.amdhsa_float_denorm_mode_32 3
		.amdhsa_float_denorm_mode_16_64 3
		.amdhsa_dx10_clamp 1
		.amdhsa_ieee_mode 1
		.amdhsa_fp16_overflow 0
		.amdhsa_exception_fp_ieee_invalid_op 0
		.amdhsa_exception_fp_denorm_src 0
		.amdhsa_exception_fp_ieee_div_zero 0
		.amdhsa_exception_fp_ieee_overflow 0
		.amdhsa_exception_fp_ieee_underflow 0
		.amdhsa_exception_fp_ieee_inexact 0
		.amdhsa_exception_int_div_zero 0
	.end_amdhsa_kernel
	.section	.text._ZN6thrust23THRUST_200600_302600_NS11hip_rocprim14__parallel_for6kernelILj256ENS1_10for_each_fINS0_6detail15normal_iteratorINS0_10device_ptrI11FixedVectorIiLj1024EEEEEENS5_16wrapped_functionI24SetFixedVectorToConstantIiLj1024EEvEEEEmLj1EEEvT0_T1_SI_,"axG",@progbits,_ZN6thrust23THRUST_200600_302600_NS11hip_rocprim14__parallel_for6kernelILj256ENS1_10for_each_fINS0_6detail15normal_iteratorINS0_10device_ptrI11FixedVectorIiLj1024EEEEEENS5_16wrapped_functionI24SetFixedVectorToConstantIiLj1024EEvEEEEmLj1EEEvT0_T1_SI_,comdat
.Lfunc_end67:
	.size	_ZN6thrust23THRUST_200600_302600_NS11hip_rocprim14__parallel_for6kernelILj256ENS1_10for_each_fINS0_6detail15normal_iteratorINS0_10device_ptrI11FixedVectorIiLj1024EEEEEENS5_16wrapped_functionI24SetFixedVectorToConstantIiLj1024EEvEEEEmLj1EEEvT0_T1_SI_, .Lfunc_end67-_ZN6thrust23THRUST_200600_302600_NS11hip_rocprim14__parallel_for6kernelILj256ENS1_10for_each_fINS0_6detail15normal_iteratorINS0_10device_ptrI11FixedVectorIiLj1024EEEEEENS5_16wrapped_functionI24SetFixedVectorToConstantIiLj1024EEvEEEEmLj1EEEvT0_T1_SI_
                                        ; -- End function
	.set _ZN6thrust23THRUST_200600_302600_NS11hip_rocprim14__parallel_for6kernelILj256ENS1_10for_each_fINS0_6detail15normal_iteratorINS0_10device_ptrI11FixedVectorIiLj1024EEEEEENS5_16wrapped_functionI24SetFixedVectorToConstantIiLj1024EEvEEEEmLj1EEEvT0_T1_SI_.num_vgpr, 23
	.set _ZN6thrust23THRUST_200600_302600_NS11hip_rocprim14__parallel_for6kernelILj256ENS1_10for_each_fINS0_6detail15normal_iteratorINS0_10device_ptrI11FixedVectorIiLj1024EEEEEENS5_16wrapped_functionI24SetFixedVectorToConstantIiLj1024EEvEEEEmLj1EEEvT0_T1_SI_.num_agpr, 0
	.set _ZN6thrust23THRUST_200600_302600_NS11hip_rocprim14__parallel_for6kernelILj256ENS1_10for_each_fINS0_6detail15normal_iteratorINS0_10device_ptrI11FixedVectorIiLj1024EEEEEENS5_16wrapped_functionI24SetFixedVectorToConstantIiLj1024EEvEEEEmLj1EEEvT0_T1_SI_.numbered_sgpr, 68
	.set _ZN6thrust23THRUST_200600_302600_NS11hip_rocprim14__parallel_for6kernelILj256ENS1_10for_each_fINS0_6detail15normal_iteratorINS0_10device_ptrI11FixedVectorIiLj1024EEEEEENS5_16wrapped_functionI24SetFixedVectorToConstantIiLj1024EEvEEEEmLj1EEEvT0_T1_SI_.num_named_barrier, 0
	.set _ZN6thrust23THRUST_200600_302600_NS11hip_rocprim14__parallel_for6kernelILj256ENS1_10for_each_fINS0_6detail15normal_iteratorINS0_10device_ptrI11FixedVectorIiLj1024EEEEEENS5_16wrapped_functionI24SetFixedVectorToConstantIiLj1024EEvEEEEmLj1EEEvT0_T1_SI_.private_seg_size, 0
	.set _ZN6thrust23THRUST_200600_302600_NS11hip_rocprim14__parallel_for6kernelILj256ENS1_10for_each_fINS0_6detail15normal_iteratorINS0_10device_ptrI11FixedVectorIiLj1024EEEEEENS5_16wrapped_functionI24SetFixedVectorToConstantIiLj1024EEvEEEEmLj1EEEvT0_T1_SI_.uses_vcc, 1
	.set _ZN6thrust23THRUST_200600_302600_NS11hip_rocprim14__parallel_for6kernelILj256ENS1_10for_each_fINS0_6detail15normal_iteratorINS0_10device_ptrI11FixedVectorIiLj1024EEEEEENS5_16wrapped_functionI24SetFixedVectorToConstantIiLj1024EEvEEEEmLj1EEEvT0_T1_SI_.uses_flat_scratch, 0
	.set _ZN6thrust23THRUST_200600_302600_NS11hip_rocprim14__parallel_for6kernelILj256ENS1_10for_each_fINS0_6detail15normal_iteratorINS0_10device_ptrI11FixedVectorIiLj1024EEEEEENS5_16wrapped_functionI24SetFixedVectorToConstantIiLj1024EEvEEEEmLj1EEEvT0_T1_SI_.has_dyn_sized_stack, 0
	.set _ZN6thrust23THRUST_200600_302600_NS11hip_rocprim14__parallel_for6kernelILj256ENS1_10for_each_fINS0_6detail15normal_iteratorINS0_10device_ptrI11FixedVectorIiLj1024EEEEEENS5_16wrapped_functionI24SetFixedVectorToConstantIiLj1024EEvEEEEmLj1EEEvT0_T1_SI_.has_recursion, 0
	.set _ZN6thrust23THRUST_200600_302600_NS11hip_rocprim14__parallel_for6kernelILj256ENS1_10for_each_fINS0_6detail15normal_iteratorINS0_10device_ptrI11FixedVectorIiLj1024EEEEEENS5_16wrapped_functionI24SetFixedVectorToConstantIiLj1024EEvEEEEmLj1EEEvT0_T1_SI_.has_indirect_call, 0
	.section	.AMDGPU.csdata,"",@progbits
; Kernel info:
; codeLenInByte = 660
; TotalNumSgprs: 72
; NumVgprs: 23
; ScratchSize: 0
; MemoryBound: 1
; FloatMode: 240
; IeeeMode: 1
; LDSByteSize: 0 bytes/workgroup (compile time only)
; SGPRBlocks: 8
; VGPRBlocks: 5
; NumSGPRsForWavesPerEU: 72
; NumVGPRsForWavesPerEU: 23
; Occupancy: 10
; WaveLimiterHint : 1
; COMPUTE_PGM_RSRC2:SCRATCH_EN: 0
; COMPUTE_PGM_RSRC2:USER_SGPR: 6
; COMPUTE_PGM_RSRC2:TRAP_HANDLER: 0
; COMPUTE_PGM_RSRC2:TGID_X_EN: 1
; COMPUTE_PGM_RSRC2:TGID_Y_EN: 0
; COMPUTE_PGM_RSRC2:TGID_Z_EN: 0
; COMPUTE_PGM_RSRC2:TIDIG_COMP_CNT: 0
	.section	.AMDGPU.gpr_maximums,"",@progbits
	.set amdgpu.max_num_vgpr, 0
	.set amdgpu.max_num_agpr, 0
	.set amdgpu.max_num_sgpr, 0
	.section	.AMDGPU.csdata,"",@progbits
	.type	__hip_cuid_d7f8615ac4203dd9,@object ; @__hip_cuid_d7f8615ac4203dd9
	.section	.bss,"aw",@nobits
	.globl	__hip_cuid_d7f8615ac4203dd9
__hip_cuid_d7f8615ac4203dd9:
	.byte	0                               ; 0x0
	.size	__hip_cuid_d7f8615ac4203dd9, 1

	.ident	"AMD clang version 22.0.0git (https://github.com/RadeonOpenCompute/llvm-project roc-7.2.4 26084 f58b06dce1f9c15707c5f808fd002e18c2accf7e)"
	.section	".note.GNU-stack","",@progbits
	.addrsig
	.addrsig_sym __hip_cuid_d7f8615ac4203dd9
	.amdgpu_metadata
---
amdhsa.kernels:
  - .args:
      - .offset:         0
        .size:           16
        .value_kind:     by_value
      - .offset:         16
        .size:           8
        .value_kind:     by_value
      - .offset:         24
        .size:           8
        .value_kind:     by_value
    .group_segment_fixed_size: 0
    .kernarg_segment_align: 8
    .kernarg_segment_size: 32
    .language:       OpenCL C
    .language_version:
      - 2
      - 0
    .max_flat_workgroup_size: 256
    .name:           _ZN6thrust23THRUST_200600_302600_NS11hip_rocprim14__parallel_for6kernelILj256ENS1_10for_each_fINS0_17counting_iteratorImNS0_11use_defaultES6_S6_EENS0_6detail16wrapped_functionI22mark_processed_functorIxEvEEEExLj1EEEvT0_T1_SF_
    .private_segment_fixed_size: 0
    .sgpr_count:     20
    .sgpr_spill_count: 0
    .symbol:         _ZN6thrust23THRUST_200600_302600_NS11hip_rocprim14__parallel_for6kernelILj256ENS1_10for_each_fINS0_17counting_iteratorImNS0_11use_defaultES6_S6_EENS0_6detail16wrapped_functionI22mark_processed_functorIxEvEEEExLj1EEEvT0_T1_SF_.kd
    .uniform_work_group_size: 1
    .uses_dynamic_stack: false
    .vgpr_count:     4
    .vgpr_spill_count: 0
    .wavefront_size: 64
  - .args:
      - .offset:         0
        .size:           16
        .value_kind:     by_value
      - .offset:         16
        .size:           8
        .value_kind:     by_value
      - .offset:         24
        .size:           8
        .value_kind:     by_value
    .group_segment_fixed_size: 0
    .kernarg_segment_align: 8
    .kernarg_segment_size: 32
    .language:       OpenCL C
    .language_version:
      - 2
      - 0
    .max_flat_workgroup_size: 256
    .name:           _ZN6thrust23THRUST_200600_302600_NS11hip_rocprim14__parallel_for6kernelILj256ENS1_10for_each_fINS0_17counting_iteratorImNS0_11use_defaultES6_S6_EENS0_6detail16wrapped_functionI22mark_processed_functorIiEvEEEExLj1EEEvT0_T1_SF_
    .private_segment_fixed_size: 0
    .sgpr_count:     20
    .sgpr_spill_count: 0
    .symbol:         _ZN6thrust23THRUST_200600_302600_NS11hip_rocprim14__parallel_for6kernelILj256ENS1_10for_each_fINS0_17counting_iteratorImNS0_11use_defaultES6_S6_EENS0_6detail16wrapped_functionI22mark_processed_functorIiEvEEEExLj1EEEvT0_T1_SF_.kd
    .uniform_work_group_size: 1
    .uses_dynamic_stack: false
    .vgpr_count:     4
    .vgpr_spill_count: 0
    .wavefront_size: 64
  - .args:
      - .offset:         0
        .size:           16
        .value_kind:     by_value
      - .offset:         16
        .size:           8
        .value_kind:     by_value
      - .offset:         24
        .size:           8
        .value_kind:     by_value
    .group_segment_fixed_size: 0
    .kernarg_segment_align: 8
    .kernarg_segment_size: 32
    .language:       OpenCL C
    .language_version:
      - 2
      - 0
    .max_flat_workgroup_size: 256
    .name:           _ZN6thrust23THRUST_200600_302600_NS11hip_rocprim14__parallel_for6kernelILj256ENS1_10for_each_fINS0_17counting_iteratorImNS0_11use_defaultES6_S6_EENS0_6detail16wrapped_functionI22mark_processed_functorIsEvEEEExLj1EEEvT0_T1_SF_
    .private_segment_fixed_size: 0
    .sgpr_count:     20
    .sgpr_spill_count: 0
    .symbol:         _ZN6thrust23THRUST_200600_302600_NS11hip_rocprim14__parallel_for6kernelILj256ENS1_10for_each_fINS0_17counting_iteratorImNS0_11use_defaultES6_S6_EENS0_6detail16wrapped_functionI22mark_processed_functorIsEvEEEExLj1EEEvT0_T1_SF_.kd
    .uniform_work_group_size: 1
    .uses_dynamic_stack: false
    .vgpr_count:     4
    .vgpr_spill_count: 0
    .wavefront_size: 64
  - .args:
      - .address_space:  global
        .offset:         0
        .size:           8
        .value_kind:     global_buffer
      - .offset:         8
        .size:           4
        .value_kind:     by_value
    .group_segment_fixed_size: 0
    .kernarg_segment_align: 8
    .kernarg_segment_size: 12
    .language:       OpenCL C
    .language_version:
      - 2
      - 0
    .max_flat_workgroup_size: 256
    .name:           _Z18simple_test_kernelI22mark_processed_functorIxEEvT_i
    .private_segment_fixed_size: 0
    .sgpr_count:     12
    .sgpr_spill_count: 0
    .symbol:         _Z18simple_test_kernelI22mark_processed_functorIxEEvT_i.kd
    .uniform_work_group_size: 1
    .uses_dynamic_stack: false
    .vgpr_count:     2
    .vgpr_spill_count: 0
    .wavefront_size: 64
  - .args:
      - .offset:         0
        .size:           16
        .value_kind:     by_value
      - .offset:         16
        .size:           8
        .value_kind:     by_value
      - .offset:         24
        .size:           8
        .value_kind:     by_value
    .group_segment_fixed_size: 0
    .kernarg_segment_align: 8
    .kernarg_segment_size: 32
    .language:       OpenCL C
    .language_version:
      - 2
      - 0
    .max_flat_workgroup_size: 256
    .name:           _ZN6thrust23THRUST_200600_302600_NS11hip_rocprim14__parallel_for6kernelILj256ENS1_10for_each_fINS0_17counting_iteratorIiNS0_11use_defaultES6_S6_EENS0_6detail16wrapped_functionI22mark_processed_functorIxEvEEEElLj1EEEvT0_T1_SF_
    .private_segment_fixed_size: 0
    .sgpr_count:     16
    .sgpr_spill_count: 0
    .symbol:         _ZN6thrust23THRUST_200600_302600_NS11hip_rocprim14__parallel_for6kernelILj256ENS1_10for_each_fINS0_17counting_iteratorIiNS0_11use_defaultES6_S6_EENS0_6detail16wrapped_functionI22mark_processed_functorIxEvEEEElLj1EEEvT0_T1_SF_.kd
    .uniform_work_group_size: 1
    .uses_dynamic_stack: false
    .vgpr_count:     4
    .vgpr_spill_count: 0
    .wavefront_size: 64
  - .args:
      - .address_space:  global
        .offset:         0
        .size:           8
        .value_kind:     global_buffer
      - .offset:         8
        .size:           4
        .value_kind:     by_value
    .group_segment_fixed_size: 0
    .kernarg_segment_align: 8
    .kernarg_segment_size: 12
    .language:       OpenCL C
    .language_version:
      - 2
      - 0
    .max_flat_workgroup_size: 256
    .name:           _Z18simple_test_kernelI22mark_processed_functorIiEEvT_i
    .private_segment_fixed_size: 0
    .sgpr_count:     12
    .sgpr_spill_count: 0
    .symbol:         _Z18simple_test_kernelI22mark_processed_functorIiEEvT_i.kd
    .uniform_work_group_size: 1
    .uses_dynamic_stack: false
    .vgpr_count:     2
    .vgpr_spill_count: 0
    .wavefront_size: 64
  - .args:
      - .offset:         0
        .size:           16
        .value_kind:     by_value
      - .offset:         16
        .size:           8
        .value_kind:     by_value
      - .offset:         24
        .size:           8
        .value_kind:     by_value
    .group_segment_fixed_size: 0
    .kernarg_segment_align: 8
    .kernarg_segment_size: 32
    .language:       OpenCL C
    .language_version:
      - 2
      - 0
    .max_flat_workgroup_size: 256
    .name:           _ZN6thrust23THRUST_200600_302600_NS11hip_rocprim14__parallel_for6kernelILj256ENS1_10for_each_fINS0_17counting_iteratorIiNS0_11use_defaultES6_S6_EENS0_6detail16wrapped_functionI22mark_processed_functorIiEvEEEElLj1EEEvT0_T1_SF_
    .private_segment_fixed_size: 0
    .sgpr_count:     16
    .sgpr_spill_count: 0
    .symbol:         _ZN6thrust23THRUST_200600_302600_NS11hip_rocprim14__parallel_for6kernelILj256ENS1_10for_each_fINS0_17counting_iteratorIiNS0_11use_defaultES6_S6_EENS0_6detail16wrapped_functionI22mark_processed_functorIiEvEEEElLj1EEEvT0_T1_SF_.kd
    .uniform_work_group_size: 1
    .uses_dynamic_stack: false
    .vgpr_count:     3
    .vgpr_spill_count: 0
    .wavefront_size: 64
  - .args:
      - .address_space:  global
        .offset:         0
        .size:           8
        .value_kind:     global_buffer
      - .offset:         8
        .size:           4
        .value_kind:     by_value
    .group_segment_fixed_size: 0
    .kernarg_segment_align: 8
    .kernarg_segment_size: 12
    .language:       OpenCL C
    .language_version:
      - 2
      - 0
    .max_flat_workgroup_size: 256
    .name:           _Z18simple_test_kernelI22mark_processed_functorIsEEvT_i
    .private_segment_fixed_size: 0
    .sgpr_count:     18
    .sgpr_spill_count: 0
    .symbol:         _Z18simple_test_kernelI22mark_processed_functorIsEEvT_i.kd
    .uniform_work_group_size: 1
    .uses_dynamic_stack: false
    .vgpr_count:     3
    .vgpr_spill_count: 0
    .wavefront_size: 64
  - .args:
      - .offset:         0
        .size:           16
        .value_kind:     by_value
      - .offset:         16
        .size:           8
        .value_kind:     by_value
      - .offset:         24
        .size:           8
        .value_kind:     by_value
    .group_segment_fixed_size: 0
    .kernarg_segment_align: 8
    .kernarg_segment_size: 32
    .language:       OpenCL C
    .language_version:
      - 2
      - 0
    .max_flat_workgroup_size: 256
    .name:           _ZN6thrust23THRUST_200600_302600_NS11hip_rocprim14__parallel_for6kernelILj256ENS1_10for_each_fINS0_17counting_iteratorIiNS0_11use_defaultES6_S6_EENS0_6detail16wrapped_functionI22mark_processed_functorIsEvEEEElLj1EEEvT0_T1_SF_
    .private_segment_fixed_size: 0
    .sgpr_count:     16
    .sgpr_spill_count: 0
    .symbol:         _ZN6thrust23THRUST_200600_302600_NS11hip_rocprim14__parallel_for6kernelILj256ENS1_10for_each_fINS0_17counting_iteratorIiNS0_11use_defaultES6_S6_EENS0_6detail16wrapped_functionI22mark_processed_functorIsEvEEEElLj1EEEvT0_T1_SF_.kd
    .uniform_work_group_size: 1
    .uses_dynamic_stack: false
    .vgpr_count:     3
    .vgpr_spill_count: 0
    .wavefront_size: 64
  - .args:
      - .offset:         0
        .size:           16
        .value_kind:     by_value
      - .offset:         16
        .size:           8
        .value_kind:     by_value
      - .offset:         24
        .size:           8
        .value_kind:     by_value
    .group_segment_fixed_size: 0
    .kernarg_segment_align: 8
    .kernarg_segment_size: 32
    .language:       OpenCL C
    .language_version:
      - 2
      - 0
    .max_flat_workgroup_size: 256
    .name:           _ZN6thrust23THRUST_200600_302600_NS11hip_rocprim14__parallel_for6kernelILj256ENS1_20__uninitialized_fill7functorINS0_10device_ptrIdEEdEEmLj1EEEvT0_T1_SA_
    .private_segment_fixed_size: 0
    .sgpr_count:     20
    .sgpr_spill_count: 0
    .symbol:         _ZN6thrust23THRUST_200600_302600_NS11hip_rocprim14__parallel_for6kernelILj256ENS1_20__uninitialized_fill7functorINS0_10device_ptrIdEEdEEmLj1EEEvT0_T1_SA_.kd
    .uniform_work_group_size: 1
    .uses_dynamic_stack: false
    .vgpr_count:     5
    .vgpr_spill_count: 0
    .wavefront_size: 64
  - .args:
      - .offset:         0
        .size:           16
        .value_kind:     by_value
      - .offset:         16
        .size:           8
        .value_kind:     by_value
      - .offset:         24
        .size:           8
        .value_kind:     by_value
    .group_segment_fixed_size: 0
    .kernarg_segment_align: 8
    .kernarg_segment_size: 32
    .language:       OpenCL C
    .language_version:
      - 2
      - 0
    .max_flat_workgroup_size: 256
    .name:           _ZN6thrust23THRUST_200600_302600_NS11hip_rocprim14__parallel_for6kernelILj256ENS1_10for_each_fINS0_6detail15normal_iteratorINS0_10device_ptrIdEEEENS5_16wrapped_functionI21mark_present_for_eachIdEvEEEElLj1EEEvT0_T1_SG_
    .private_segment_fixed_size: 0
    .sgpr_count:     20
    .sgpr_spill_count: 0
    .symbol:         _ZN6thrust23THRUST_200600_302600_NS11hip_rocprim14__parallel_for6kernelILj256ENS1_10for_each_fINS0_6detail15normal_iteratorINS0_10device_ptrIdEEEENS5_16wrapped_functionI21mark_present_for_eachIdEvEEEElLj1EEEvT0_T1_SG_.kd
    .uniform_work_group_size: 1
    .uses_dynamic_stack: false
    .vgpr_count:     4
    .vgpr_spill_count: 0
    .wavefront_size: 64
  - .args:
      - .offset:         0
        .size:           16
        .value_kind:     by_value
      - .offset:         16
        .size:           8
        .value_kind:     by_value
      - .offset:         24
        .size:           8
        .value_kind:     by_value
    .group_segment_fixed_size: 0
    .kernarg_segment_align: 8
    .kernarg_segment_size: 32
    .language:       OpenCL C
    .language_version:
      - 2
      - 0
    .max_flat_workgroup_size: 256
    .name:           _ZN6thrust23THRUST_200600_302600_NS11hip_rocprim14__parallel_for6kernelILj256ENS1_20__uninitialized_fill7functorINS0_10device_ptrIfEEfEEmLj1EEEvT0_T1_SA_
    .private_segment_fixed_size: 0
    .sgpr_count:     20
    .sgpr_spill_count: 0
    .symbol:         _ZN6thrust23THRUST_200600_302600_NS11hip_rocprim14__parallel_for6kernelILj256ENS1_20__uninitialized_fill7functorINS0_10device_ptrIfEEfEEmLj1EEEvT0_T1_SA_.kd
    .uniform_work_group_size: 1
    .uses_dynamic_stack: false
    .vgpr_count:     4
    .vgpr_spill_count: 0
    .wavefront_size: 64
  - .args:
      - .offset:         0
        .size:           16
        .value_kind:     by_value
      - .offset:         16
        .size:           8
        .value_kind:     by_value
      - .offset:         24
        .size:           8
        .value_kind:     by_value
    .group_segment_fixed_size: 0
    .kernarg_segment_align: 8
    .kernarg_segment_size: 32
    .language:       OpenCL C
    .language_version:
      - 2
      - 0
    .max_flat_workgroup_size: 256
    .name:           _ZN6thrust23THRUST_200600_302600_NS11hip_rocprim14__parallel_for6kernelILj256ENS1_10for_each_fINS0_6detail15normal_iteratorINS0_10device_ptrIfEEEENS5_16wrapped_functionI21mark_present_for_eachIfEvEEEElLj1EEEvT0_T1_SG_
    .private_segment_fixed_size: 0
    .sgpr_count:     20
    .sgpr_spill_count: 0
    .symbol:         _ZN6thrust23THRUST_200600_302600_NS11hip_rocprim14__parallel_for6kernelILj256ENS1_10for_each_fINS0_6detail15normal_iteratorINS0_10device_ptrIfEEEENS5_16wrapped_functionI21mark_present_for_eachIfEvEEEElLj1EEEvT0_T1_SG_.kd
    .uniform_work_group_size: 1
    .uses_dynamic_stack: false
    .vgpr_count:     3
    .vgpr_spill_count: 0
    .wavefront_size: 64
  - .args:
      - .offset:         0
        .size:           16
        .value_kind:     by_value
      - .offset:         16
        .size:           8
        .value_kind:     by_value
      - .offset:         24
        .size:           8
        .value_kind:     by_value
    .group_segment_fixed_size: 0
    .kernarg_segment_align: 8
    .kernarg_segment_size: 32
    .language:       OpenCL C
    .language_version:
      - 2
      - 0
    .max_flat_workgroup_size: 256
    .name:           _ZN6thrust23THRUST_200600_302600_NS11hip_rocprim14__parallel_for6kernelILj256ENS1_20__uninitialized_fill7functorINS0_10device_ptrIyEEyEEmLj1EEEvT0_T1_SA_
    .private_segment_fixed_size: 0
    .sgpr_count:     20
    .sgpr_spill_count: 0
    .symbol:         _ZN6thrust23THRUST_200600_302600_NS11hip_rocprim14__parallel_for6kernelILj256ENS1_20__uninitialized_fill7functorINS0_10device_ptrIyEEyEEmLj1EEEvT0_T1_SA_.kd
    .uniform_work_group_size: 1
    .uses_dynamic_stack: false
    .vgpr_count:     5
    .vgpr_spill_count: 0
    .wavefront_size: 64
  - .args:
      - .offset:         0
        .size:           16
        .value_kind:     by_value
      - .offset:         16
        .size:           8
        .value_kind:     by_value
      - .offset:         24
        .size:           8
        .value_kind:     by_value
    .group_segment_fixed_size: 0
    .kernarg_segment_align: 8
    .kernarg_segment_size: 32
    .language:       OpenCL C
    .language_version:
      - 2
      - 0
    .max_flat_workgroup_size: 256
    .name:           _ZN6thrust23THRUST_200600_302600_NS11hip_rocprim14__parallel_for6kernelILj256ENS1_10for_each_fINS0_6detail15normal_iteratorINS0_10device_ptrIyEEEENS5_16wrapped_functionI21mark_present_for_eachIyEvEEEElLj1EEEvT0_T1_SG_
    .private_segment_fixed_size: 0
    .sgpr_count:     20
    .sgpr_spill_count: 0
    .symbol:         _ZN6thrust23THRUST_200600_302600_NS11hip_rocprim14__parallel_for6kernelILj256ENS1_10for_each_fINS0_6detail15normal_iteratorINS0_10device_ptrIyEEEENS5_16wrapped_functionI21mark_present_for_eachIyEvEEEElLj1EEEvT0_T1_SG_.kd
    .uniform_work_group_size: 1
    .uses_dynamic_stack: false
    .vgpr_count:     7
    .vgpr_spill_count: 0
    .wavefront_size: 64
  - .args:
      - .offset:         0
        .size:           16
        .value_kind:     by_value
      - .offset:         16
        .size:           8
        .value_kind:     by_value
      - .offset:         24
        .size:           8
        .value_kind:     by_value
    .group_segment_fixed_size: 0
    .kernarg_segment_align: 8
    .kernarg_segment_size: 32
    .language:       OpenCL C
    .language_version:
      - 2
      - 0
    .max_flat_workgroup_size: 256
    .name:           _ZN6thrust23THRUST_200600_302600_NS11hip_rocprim14__parallel_for6kernelILj256ENS1_20__uninitialized_fill7functorINS0_10device_ptrIjEEjEEmLj1EEEvT0_T1_SA_
    .private_segment_fixed_size: 0
    .sgpr_count:     20
    .sgpr_spill_count: 0
    .symbol:         _ZN6thrust23THRUST_200600_302600_NS11hip_rocprim14__parallel_for6kernelILj256ENS1_20__uninitialized_fill7functorINS0_10device_ptrIjEEjEEmLj1EEEvT0_T1_SA_.kd
    .uniform_work_group_size: 1
    .uses_dynamic_stack: false
    .vgpr_count:     4
    .vgpr_spill_count: 0
    .wavefront_size: 64
  - .args:
      - .offset:         0
        .size:           16
        .value_kind:     by_value
      - .offset:         16
        .size:           8
        .value_kind:     by_value
      - .offset:         24
        .size:           8
        .value_kind:     by_value
    .group_segment_fixed_size: 0
    .kernarg_segment_align: 8
    .kernarg_segment_size: 32
    .language:       OpenCL C
    .language_version:
      - 2
      - 0
    .max_flat_workgroup_size: 256
    .name:           _ZN6thrust23THRUST_200600_302600_NS11hip_rocprim14__parallel_for6kernelILj256ENS1_10for_each_fINS0_6detail15normal_iteratorINS0_10device_ptrIjEEEENS5_16wrapped_functionI21mark_present_for_eachIjEvEEEElLj1EEEvT0_T1_SG_
    .private_segment_fixed_size: 0
    .sgpr_count:     20
    .sgpr_spill_count: 0
    .symbol:         _ZN6thrust23THRUST_200600_302600_NS11hip_rocprim14__parallel_for6kernelILj256ENS1_10for_each_fINS0_6detail15normal_iteratorINS0_10device_ptrIjEEEENS5_16wrapped_functionI21mark_present_for_eachIjEvEEEElLj1EEEvT0_T1_SG_.kd
    .uniform_work_group_size: 1
    .uses_dynamic_stack: false
    .vgpr_count:     3
    .vgpr_spill_count: 0
    .wavefront_size: 64
  - .args:
      - .offset:         0
        .size:           16
        .value_kind:     by_value
      - .offset:         16
        .size:           8
        .value_kind:     by_value
      - .offset:         24
        .size:           8
        .value_kind:     by_value
    .group_segment_fixed_size: 0
    .kernarg_segment_align: 8
    .kernarg_segment_size: 32
    .language:       OpenCL C
    .language_version:
      - 2
      - 0
    .max_flat_workgroup_size: 256
    .name:           _ZN6thrust23THRUST_200600_302600_NS11hip_rocprim14__parallel_for6kernelILj256ENS1_20__uninitialized_fill7functorINS0_10device_ptrItEEtEEmLj1EEEvT0_T1_SA_
    .private_segment_fixed_size: 0
    .sgpr_count:     20
    .sgpr_spill_count: 0
    .symbol:         _ZN6thrust23THRUST_200600_302600_NS11hip_rocprim14__parallel_for6kernelILj256ENS1_20__uninitialized_fill7functorINS0_10device_ptrItEEtEEmLj1EEEvT0_T1_SA_.kd
    .uniform_work_group_size: 1
    .uses_dynamic_stack: false
    .vgpr_count:     4
    .vgpr_spill_count: 0
    .wavefront_size: 64
  - .args:
      - .offset:         0
        .size:           16
        .value_kind:     by_value
      - .offset:         16
        .size:           8
        .value_kind:     by_value
      - .offset:         24
        .size:           8
        .value_kind:     by_value
    .group_segment_fixed_size: 0
    .kernarg_segment_align: 8
    .kernarg_segment_size: 32
    .language:       OpenCL C
    .language_version:
      - 2
      - 0
    .max_flat_workgroup_size: 256
    .name:           _ZN6thrust23THRUST_200600_302600_NS11hip_rocprim14__parallel_for6kernelILj256ENS1_10for_each_fINS0_6detail15normal_iteratorINS0_10device_ptrItEEEENS5_16wrapped_functionI21mark_present_for_eachItEvEEEElLj1EEEvT0_T1_SG_
    .private_segment_fixed_size: 0
    .sgpr_count:     20
    .sgpr_spill_count: 0
    .symbol:         _ZN6thrust23THRUST_200600_302600_NS11hip_rocprim14__parallel_for6kernelILj256ENS1_10for_each_fINS0_6detail15normal_iteratorINS0_10device_ptrItEEEENS5_16wrapped_functionI21mark_present_for_eachItEvEEEElLj1EEEvT0_T1_SG_.kd
    .uniform_work_group_size: 1
    .uses_dynamic_stack: false
    .vgpr_count:     3
    .vgpr_spill_count: 0
    .wavefront_size: 64
  - .args:
      - .offset:         0
        .size:           16
        .value_kind:     by_value
      - .offset:         16
        .size:           8
        .value_kind:     by_value
      - .offset:         24
        .size:           8
        .value_kind:     by_value
    .group_segment_fixed_size: 0
    .kernarg_segment_align: 8
    .kernarg_segment_size: 32
    .language:       OpenCL C
    .language_version:
      - 2
      - 0
    .max_flat_workgroup_size: 256
    .name:           _ZN6thrust23THRUST_200600_302600_NS11hip_rocprim14__parallel_for6kernelILj256ENS1_20__uninitialized_fill7functorINS0_10device_ptrIxEExEEmLj1EEEvT0_T1_SA_
    .private_segment_fixed_size: 0
    .sgpr_count:     20
    .sgpr_spill_count: 0
    .symbol:         _ZN6thrust23THRUST_200600_302600_NS11hip_rocprim14__parallel_for6kernelILj256ENS1_20__uninitialized_fill7functorINS0_10device_ptrIxEExEEmLj1EEEvT0_T1_SA_.kd
    .uniform_work_group_size: 1
    .uses_dynamic_stack: false
    .vgpr_count:     5
    .vgpr_spill_count: 0
    .wavefront_size: 64
  - .args:
      - .offset:         0
        .size:           16
        .value_kind:     by_value
      - .offset:         16
        .size:           8
        .value_kind:     by_value
      - .offset:         24
        .size:           8
        .value_kind:     by_value
    .group_segment_fixed_size: 0
    .kernarg_segment_align: 8
    .kernarg_segment_size: 32
    .language:       OpenCL C
    .language_version:
      - 2
      - 0
    .max_flat_workgroup_size: 256
    .name:           _ZN6thrust23THRUST_200600_302600_NS11hip_rocprim14__parallel_for6kernelILj256ENS1_10for_each_fINS0_6detail15normal_iteratorINS0_10device_ptrIxEEEENS5_16wrapped_functionI21mark_present_for_eachIxEvEEEElLj1EEEvT0_T1_SG_
    .private_segment_fixed_size: 0
    .sgpr_count:     20
    .sgpr_spill_count: 0
    .symbol:         _ZN6thrust23THRUST_200600_302600_NS11hip_rocprim14__parallel_for6kernelILj256ENS1_10for_each_fINS0_6detail15normal_iteratorINS0_10device_ptrIxEEEENS5_16wrapped_functionI21mark_present_for_eachIxEvEEEElLj1EEEvT0_T1_SG_.kd
    .uniform_work_group_size: 1
    .uses_dynamic_stack: false
    .vgpr_count:     7
    .vgpr_spill_count: 0
    .wavefront_size: 64
  - .args:
      - .offset:         0
        .size:           16
        .value_kind:     by_value
      - .offset:         16
        .size:           8
        .value_kind:     by_value
      - .offset:         24
        .size:           8
        .value_kind:     by_value
    .group_segment_fixed_size: 0
    .kernarg_segment_align: 8
    .kernarg_segment_size: 32
    .language:       OpenCL C
    .language_version:
      - 2
      - 0
    .max_flat_workgroup_size: 256
    .name:           _ZN6thrust23THRUST_200600_302600_NS11hip_rocprim14__parallel_for6kernelILj256ENS1_10for_each_fINS0_6detail15normal_iteratorINS0_10device_ptrIiEEEENS5_16wrapped_functionI21mark_present_for_eachIiEvEEEElLj1EEEvT0_T1_SG_
    .private_segment_fixed_size: 0
    .sgpr_count:     20
    .sgpr_spill_count: 0
    .symbol:         _ZN6thrust23THRUST_200600_302600_NS11hip_rocprim14__parallel_for6kernelILj256ENS1_10for_each_fINS0_6detail15normal_iteratorINS0_10device_ptrIiEEEENS5_16wrapped_functionI21mark_present_for_eachIiEvEEEElLj1EEEvT0_T1_SG_.kd
    .uniform_work_group_size: 1
    .uses_dynamic_stack: false
    .vgpr_count:     3
    .vgpr_spill_count: 0
    .wavefront_size: 64
  - .args:
      - .offset:         0
        .size:           16
        .value_kind:     by_value
      - .offset:         16
        .size:           8
        .value_kind:     by_value
      - .offset:         24
        .size:           8
        .value_kind:     by_value
    .group_segment_fixed_size: 0
    .kernarg_segment_align: 8
    .kernarg_segment_size: 32
    .language:       OpenCL C
    .language_version:
      - 2
      - 0
    .max_flat_workgroup_size: 256
    .name:           _ZN6thrust23THRUST_200600_302600_NS11hip_rocprim14__parallel_for6kernelILj256ENS1_20__uninitialized_fill7functorINS0_10device_ptrIsEEsEEmLj1EEEvT0_T1_SA_
    .private_segment_fixed_size: 0
    .sgpr_count:     20
    .sgpr_spill_count: 0
    .symbol:         _ZN6thrust23THRUST_200600_302600_NS11hip_rocprim14__parallel_for6kernelILj256ENS1_20__uninitialized_fill7functorINS0_10device_ptrIsEEsEEmLj1EEEvT0_T1_SA_.kd
    .uniform_work_group_size: 1
    .uses_dynamic_stack: false
    .vgpr_count:     4
    .vgpr_spill_count: 0
    .wavefront_size: 64
  - .args:
      - .offset:         0
        .size:           16
        .value_kind:     by_value
      - .offset:         16
        .size:           8
        .value_kind:     by_value
      - .offset:         24
        .size:           8
        .value_kind:     by_value
    .group_segment_fixed_size: 0
    .kernarg_segment_align: 8
    .kernarg_segment_size: 32
    .language:       OpenCL C
    .language_version:
      - 2
      - 0
    .max_flat_workgroup_size: 256
    .name:           _ZN6thrust23THRUST_200600_302600_NS11hip_rocprim14__parallel_for6kernelILj256ENS1_10for_each_fINS0_6detail15normal_iteratorINS0_10device_ptrIsEEEENS5_16wrapped_functionI21mark_present_for_eachIsEvEEEElLj1EEEvT0_T1_SG_
    .private_segment_fixed_size: 0
    .sgpr_count:     20
    .sgpr_spill_count: 0
    .symbol:         _ZN6thrust23THRUST_200600_302600_NS11hip_rocprim14__parallel_for6kernelILj256ENS1_10for_each_fINS0_6detail15normal_iteratorINS0_10device_ptrIsEEEENS5_16wrapped_functionI21mark_present_for_eachIsEvEEEElLj1EEEvT0_T1_SG_.kd
    .uniform_work_group_size: 1
    .uses_dynamic_stack: false
    .vgpr_count:     3
    .vgpr_spill_count: 0
    .wavefront_size: 64
  - .args:
      - .offset:         0
        .size:           16
        .value_kind:     by_value
      - .offset:         16
        .size:           8
        .value_kind:     by_value
      - .offset:         24
        .size:           8
        .value_kind:     by_value
    .group_segment_fixed_size: 0
    .kernarg_segment_align: 8
    .kernarg_segment_size: 32
    .language:       OpenCL C
    .language_version:
      - 2
      - 0
    .max_flat_workgroup_size: 256
    .name:           _ZN6thrust23THRUST_200600_302600_NS11hip_rocprim14__parallel_for6kernelILj256ENS1_20__uninitialized_fill7functorINS0_10device_ptrIiEEiEEmLj1EEEvT0_T1_SA_
    .private_segment_fixed_size: 0
    .sgpr_count:     20
    .sgpr_spill_count: 0
    .symbol:         _ZN6thrust23THRUST_200600_302600_NS11hip_rocprim14__parallel_for6kernelILj256ENS1_20__uninitialized_fill7functorINS0_10device_ptrIiEEiEEmLj1EEEvT0_T1_SA_.kd
    .uniform_work_group_size: 1
    .uses_dynamic_stack: false
    .vgpr_count:     4
    .vgpr_spill_count: 0
    .wavefront_size: 64
  - .args:
      - .offset:         0
        .size:           16
        .value_kind:     by_value
      - .offset:         16
        .size:           8
        .value_kind:     by_value
      - .offset:         24
        .size:           8
        .value_kind:     by_value
    .group_segment_fixed_size: 0
    .kernarg_segment_align: 8
    .kernarg_segment_size: 32
    .language:       OpenCL C
    .language_version:
      - 2
      - 0
    .max_flat_workgroup_size: 256
    .name:           _ZN6thrust23THRUST_200600_302600_NS11hip_rocprim14__parallel_for6kernelILj256ENS1_10for_each_fINS0_6detail15normal_iteratorINS0_10device_ptrIdEEEENS5_16wrapped_functionI21mark_present_for_eachIdEvEEEEmLj1EEEvT0_T1_SG_
    .private_segment_fixed_size: 0
    .sgpr_count:     20
    .sgpr_spill_count: 0
    .symbol:         _ZN6thrust23THRUST_200600_302600_NS11hip_rocprim14__parallel_for6kernelILj256ENS1_10for_each_fINS0_6detail15normal_iteratorINS0_10device_ptrIdEEEENS5_16wrapped_functionI21mark_present_for_eachIdEvEEEEmLj1EEEvT0_T1_SG_.kd
    .uniform_work_group_size: 1
    .uses_dynamic_stack: false
    .vgpr_count:     4
    .vgpr_spill_count: 0
    .wavefront_size: 64
  - .args:
      - .offset:         0
        .size:           16
        .value_kind:     by_value
      - .offset:         16
        .size:           8
        .value_kind:     by_value
      - .offset:         24
        .size:           8
        .value_kind:     by_value
    .group_segment_fixed_size: 0
    .kernarg_segment_align: 8
    .kernarg_segment_size: 32
    .language:       OpenCL C
    .language_version:
      - 2
      - 0
    .max_flat_workgroup_size: 256
    .name:           _ZN6thrust23THRUST_200600_302600_NS11hip_rocprim14__parallel_for6kernelILj256ENS1_10for_each_fINS0_6detail15normal_iteratorINS0_10device_ptrIfEEEENS5_16wrapped_functionI21mark_present_for_eachIfEvEEEEmLj1EEEvT0_T1_SG_
    .private_segment_fixed_size: 0
    .sgpr_count:     20
    .sgpr_spill_count: 0
    .symbol:         _ZN6thrust23THRUST_200600_302600_NS11hip_rocprim14__parallel_for6kernelILj256ENS1_10for_each_fINS0_6detail15normal_iteratorINS0_10device_ptrIfEEEENS5_16wrapped_functionI21mark_present_for_eachIfEvEEEEmLj1EEEvT0_T1_SG_.kd
    .uniform_work_group_size: 1
    .uses_dynamic_stack: false
    .vgpr_count:     3
    .vgpr_spill_count: 0
    .wavefront_size: 64
  - .args:
      - .offset:         0
        .size:           16
        .value_kind:     by_value
      - .offset:         16
        .size:           8
        .value_kind:     by_value
      - .offset:         24
        .size:           8
        .value_kind:     by_value
    .group_segment_fixed_size: 0
    .kernarg_segment_align: 8
    .kernarg_segment_size: 32
    .language:       OpenCL C
    .language_version:
      - 2
      - 0
    .max_flat_workgroup_size: 256
    .name:           _ZN6thrust23THRUST_200600_302600_NS11hip_rocprim14__parallel_for6kernelILj256ENS1_10for_each_fINS0_6detail15normal_iteratorINS0_10device_ptrIyEEEENS5_16wrapped_functionI21mark_present_for_eachIyEvEEEEmLj1EEEvT0_T1_SG_
    .private_segment_fixed_size: 0
    .sgpr_count:     20
    .sgpr_spill_count: 0
    .symbol:         _ZN6thrust23THRUST_200600_302600_NS11hip_rocprim14__parallel_for6kernelILj256ENS1_10for_each_fINS0_6detail15normal_iteratorINS0_10device_ptrIyEEEENS5_16wrapped_functionI21mark_present_for_eachIyEvEEEEmLj1EEEvT0_T1_SG_.kd
    .uniform_work_group_size: 1
    .uses_dynamic_stack: false
    .vgpr_count:     7
    .vgpr_spill_count: 0
    .wavefront_size: 64
  - .args:
      - .offset:         0
        .size:           16
        .value_kind:     by_value
      - .offset:         16
        .size:           8
        .value_kind:     by_value
      - .offset:         24
        .size:           8
        .value_kind:     by_value
    .group_segment_fixed_size: 0
    .kernarg_segment_align: 8
    .kernarg_segment_size: 32
    .language:       OpenCL C
    .language_version:
      - 2
      - 0
    .max_flat_workgroup_size: 256
    .name:           _ZN6thrust23THRUST_200600_302600_NS11hip_rocprim14__parallel_for6kernelILj256ENS1_10for_each_fINS0_6detail15normal_iteratorINS0_10device_ptrIjEEEENS5_16wrapped_functionI21mark_present_for_eachIjEvEEEEmLj1EEEvT0_T1_SG_
    .private_segment_fixed_size: 0
    .sgpr_count:     20
    .sgpr_spill_count: 0
    .symbol:         _ZN6thrust23THRUST_200600_302600_NS11hip_rocprim14__parallel_for6kernelILj256ENS1_10for_each_fINS0_6detail15normal_iteratorINS0_10device_ptrIjEEEENS5_16wrapped_functionI21mark_present_for_eachIjEvEEEEmLj1EEEvT0_T1_SG_.kd
    .uniform_work_group_size: 1
    .uses_dynamic_stack: false
    .vgpr_count:     3
    .vgpr_spill_count: 0
    .wavefront_size: 64
  - .args:
      - .offset:         0
        .size:           16
        .value_kind:     by_value
      - .offset:         16
        .size:           8
        .value_kind:     by_value
      - .offset:         24
        .size:           8
        .value_kind:     by_value
    .group_segment_fixed_size: 0
    .kernarg_segment_align: 8
    .kernarg_segment_size: 32
    .language:       OpenCL C
    .language_version:
      - 2
      - 0
    .max_flat_workgroup_size: 256
    .name:           _ZN6thrust23THRUST_200600_302600_NS11hip_rocprim14__parallel_for6kernelILj256ENS1_10for_each_fINS0_6detail15normal_iteratorINS0_10device_ptrItEEEENS5_16wrapped_functionI21mark_present_for_eachItEvEEEEmLj1EEEvT0_T1_SG_
    .private_segment_fixed_size: 0
    .sgpr_count:     20
    .sgpr_spill_count: 0
    .symbol:         _ZN6thrust23THRUST_200600_302600_NS11hip_rocprim14__parallel_for6kernelILj256ENS1_10for_each_fINS0_6detail15normal_iteratorINS0_10device_ptrItEEEENS5_16wrapped_functionI21mark_present_for_eachItEvEEEEmLj1EEEvT0_T1_SG_.kd
    .uniform_work_group_size: 1
    .uses_dynamic_stack: false
    .vgpr_count:     3
    .vgpr_spill_count: 0
    .wavefront_size: 64
  - .args:
      - .offset:         0
        .size:           16
        .value_kind:     by_value
      - .offset:         16
        .size:           8
        .value_kind:     by_value
      - .offset:         24
        .size:           8
        .value_kind:     by_value
    .group_segment_fixed_size: 0
    .kernarg_segment_align: 8
    .kernarg_segment_size: 32
    .language:       OpenCL C
    .language_version:
      - 2
      - 0
    .max_flat_workgroup_size: 256
    .name:           _ZN6thrust23THRUST_200600_302600_NS11hip_rocprim14__parallel_for6kernelILj256ENS1_10for_each_fINS0_6detail15normal_iteratorINS0_10device_ptrIxEEEENS5_16wrapped_functionI21mark_present_for_eachIxEvEEEEmLj1EEEvT0_T1_SG_
    .private_segment_fixed_size: 0
    .sgpr_count:     20
    .sgpr_spill_count: 0
    .symbol:         _ZN6thrust23THRUST_200600_302600_NS11hip_rocprim14__parallel_for6kernelILj256ENS1_10for_each_fINS0_6detail15normal_iteratorINS0_10device_ptrIxEEEENS5_16wrapped_functionI21mark_present_for_eachIxEvEEEEmLj1EEEvT0_T1_SG_.kd
    .uniform_work_group_size: 1
    .uses_dynamic_stack: false
    .vgpr_count:     7
    .vgpr_spill_count: 0
    .wavefront_size: 64
  - .args:
      - .offset:         0
        .size:           16
        .value_kind:     by_value
      - .offset:         16
        .size:           8
        .value_kind:     by_value
      - .offset:         24
        .size:           8
        .value_kind:     by_value
    .group_segment_fixed_size: 0
    .kernarg_segment_align: 8
    .kernarg_segment_size: 32
    .language:       OpenCL C
    .language_version:
      - 2
      - 0
    .max_flat_workgroup_size: 256
    .name:           _ZN6thrust23THRUST_200600_302600_NS11hip_rocprim14__parallel_for6kernelILj256ENS1_10for_each_fINS0_6detail15normal_iteratorINS0_10device_ptrIiEEEENS5_16wrapped_functionI21mark_present_for_eachIiEvEEEEmLj1EEEvT0_T1_SG_
    .private_segment_fixed_size: 0
    .sgpr_count:     20
    .sgpr_spill_count: 0
    .symbol:         _ZN6thrust23THRUST_200600_302600_NS11hip_rocprim14__parallel_for6kernelILj256ENS1_10for_each_fINS0_6detail15normal_iteratorINS0_10device_ptrIiEEEENS5_16wrapped_functionI21mark_present_for_eachIiEvEEEEmLj1EEEvT0_T1_SG_.kd
    .uniform_work_group_size: 1
    .uses_dynamic_stack: false
    .vgpr_count:     3
    .vgpr_spill_count: 0
    .wavefront_size: 64
  - .args:
      - .offset:         0
        .size:           16
        .value_kind:     by_value
      - .offset:         16
        .size:           8
        .value_kind:     by_value
      - .offset:         24
        .size:           8
        .value_kind:     by_value
    .group_segment_fixed_size: 0
    .kernarg_segment_align: 8
    .kernarg_segment_size: 32
    .language:       OpenCL C
    .language_version:
      - 2
      - 0
    .max_flat_workgroup_size: 256
    .name:           _ZN6thrust23THRUST_200600_302600_NS11hip_rocprim14__parallel_for6kernelILj256ENS1_10for_each_fINS0_6detail15normal_iteratorINS0_10device_ptrIsEEEENS5_16wrapped_functionI21mark_present_for_eachIsEvEEEEmLj1EEEvT0_T1_SG_
    .private_segment_fixed_size: 0
    .sgpr_count:     20
    .sgpr_spill_count: 0
    .symbol:         _ZN6thrust23THRUST_200600_302600_NS11hip_rocprim14__parallel_for6kernelILj256ENS1_10for_each_fINS0_6detail15normal_iteratorINS0_10device_ptrIsEEEENS5_16wrapped_functionI21mark_present_for_eachIsEvEEEEmLj1EEEvT0_T1_SG_.kd
    .uniform_work_group_size: 1
    .uses_dynamic_stack: false
    .vgpr_count:     3
    .vgpr_spill_count: 0
    .wavefront_size: 64
  - .args:
      - .offset:         0
        .size:           16
        .value_kind:     by_value
      - .offset:         16
        .size:           8
        .value_kind:     by_value
      - .offset:         24
        .size:           8
        .value_kind:     by_value
    .group_segment_fixed_size: 0
    .kernarg_segment_align: 8
    .kernarg_segment_size: 32
    .language:       OpenCL C
    .language_version:
      - 2
      - 0
    .max_flat_workgroup_size: 256
    .name:           _ZN6thrust23THRUST_200600_302600_NS11hip_rocprim14__parallel_for6kernelILj256ENS1_10for_each_fINS0_17counting_iteratorIiNS0_11use_defaultES6_S6_EENS0_6detail16wrapped_functionI21mark_present_for_eachIiEvEEEElLj1EEEvT0_T1_SF_
    .private_segment_fixed_size: 0
    .sgpr_count:     16
    .sgpr_spill_count: 0
    .symbol:         _ZN6thrust23THRUST_200600_302600_NS11hip_rocprim14__parallel_for6kernelILj256ENS1_10for_each_fINS0_17counting_iteratorIiNS0_11use_defaultES6_S6_EENS0_6detail16wrapped_functionI21mark_present_for_eachIiEvEEEElLj1EEEvT0_T1_SF_.kd
    .uniform_work_group_size: 1
    .uses_dynamic_stack: false
    .vgpr_count:     3
    .vgpr_spill_count: 0
    .wavefront_size: 64
  - .args:
      - .offset:         0
        .size:           16
        .value_kind:     by_value
      - .offset:         16
        .size:           4
        .value_kind:     by_value
      - .offset:         20
        .size:           4
        .value_kind:     by_value
    .group_segment_fixed_size: 0
    .kernarg_segment_align: 8
    .kernarg_segment_size: 24
    .language:       OpenCL C
    .language_version:
      - 2
      - 0
    .max_flat_workgroup_size: 256
    .name:           _ZN6thrust23THRUST_200600_302600_NS11hip_rocprim14__parallel_for6kernelILj256ENS1_10for_each_fINS0_17counting_iteratorIiNS0_11use_defaultES6_S6_EENS0_6detail16wrapped_functionI21mark_present_for_eachIiEvEEEEiLj1EEEvT0_T1_SF_
    .private_segment_fixed_size: 0
    .sgpr_count:     12
    .sgpr_spill_count: 0
    .symbol:         _ZN6thrust23THRUST_200600_302600_NS11hip_rocprim14__parallel_for6kernelILj256ENS1_10for_each_fINS0_17counting_iteratorIiNS0_11use_defaultES6_S6_EENS0_6detail16wrapped_functionI21mark_present_for_eachIiEvEEEEiLj1EEEvT0_T1_SF_.kd
    .uniform_work_group_size: 1
    .uses_dynamic_stack: false
    .vgpr_count:     3
    .vgpr_spill_count: 0
    .wavefront_size: 64
  - .args:
      - .offset:         0
        .size:           16
        .value_kind:     by_value
      - .offset:         16
        .size:           8
        .value_kind:     by_value
      - .offset:         24
        .size:           8
        .value_kind:     by_value
    .group_segment_fixed_size: 0
    .kernarg_segment_align: 8
    .kernarg_segment_size: 32
    .language:       OpenCL C
    .language_version:
      - 2
      - 0
    .max_flat_workgroup_size: 256
    .name:           _ZN6thrust23THRUST_200600_302600_NS11hip_rocprim14__parallel_for6kernelILj256ENS1_10for_each_fINS0_10device_ptrI11FixedVectorIiLj1EEEENS0_6detail16wrapped_functionINS9_23allocator_traits_detail5gozerEvEEEElLj1EEEvT0_T1_SG_
    .private_segment_fixed_size: 0
    .sgpr_count:     4
    .sgpr_spill_count: 0
    .symbol:         _ZN6thrust23THRUST_200600_302600_NS11hip_rocprim14__parallel_for6kernelILj256ENS1_10for_each_fINS0_10device_ptrI11FixedVectorIiLj1EEEENS0_6detail16wrapped_functionINS9_23allocator_traits_detail5gozerEvEEEElLj1EEEvT0_T1_SG_.kd
    .uniform_work_group_size: 1
    .uses_dynamic_stack: false
    .vgpr_count:     0
    .vgpr_spill_count: 0
    .wavefront_size: 64
  - .args:
      - .offset:         0
        .size:           16
        .value_kind:     by_value
      - .offset:         16
        .size:           8
        .value_kind:     by_value
      - .offset:         24
        .size:           8
        .value_kind:     by_value
    .group_segment_fixed_size: 0
    .kernarg_segment_align: 8
    .kernarg_segment_size: 32
    .language:       OpenCL C
    .language_version:
      - 2
      - 0
    .max_flat_workgroup_size: 256
    .name:           _ZN6thrust23THRUST_200600_302600_NS11hip_rocprim14__parallel_for6kernelILj256ENS1_10for_each_fINS0_6detail15normal_iteratorINS0_10device_ptrI11FixedVectorIiLj1EEEEEENS5_16wrapped_functionI24SetFixedVectorToConstantIiLj1EEvEEEElLj1EEEvT0_T1_SI_
    .private_segment_fixed_size: 0
    .sgpr_count:     16
    .sgpr_spill_count: 0
    .symbol:         _ZN6thrust23THRUST_200600_302600_NS11hip_rocprim14__parallel_for6kernelILj256ENS1_10for_each_fINS0_6detail15normal_iteratorINS0_10device_ptrI11FixedVectorIiLj1EEEEEENS5_16wrapped_functionI24SetFixedVectorToConstantIiLj1EEvEEEElLj1EEEvT0_T1_SI_.kd
    .uniform_work_group_size: 1
    .uses_dynamic_stack: false
    .vgpr_count:     4
    .vgpr_spill_count: 0
    .wavefront_size: 64
  - .args:
      - .offset:         0
        .size:           16
        .value_kind:     by_value
      - .offset:         16
        .size:           8
        .value_kind:     by_value
      - .offset:         24
        .size:           8
        .value_kind:     by_value
    .group_segment_fixed_size: 0
    .kernarg_segment_align: 8
    .kernarg_segment_size: 32
    .language:       OpenCL C
    .language_version:
      - 2
      - 0
    .max_flat_workgroup_size: 256
    .name:           _ZN6thrust23THRUST_200600_302600_NS11hip_rocprim14__parallel_for6kernelILj256ENS1_10for_each_fINS0_10device_ptrI11FixedVectorIiLj2EEEENS0_6detail16wrapped_functionINS9_23allocator_traits_detail5gozerEvEEEElLj1EEEvT0_T1_SG_
    .private_segment_fixed_size: 0
    .sgpr_count:     4
    .sgpr_spill_count: 0
    .symbol:         _ZN6thrust23THRUST_200600_302600_NS11hip_rocprim14__parallel_for6kernelILj256ENS1_10for_each_fINS0_10device_ptrI11FixedVectorIiLj2EEEENS0_6detail16wrapped_functionINS9_23allocator_traits_detail5gozerEvEEEElLj1EEEvT0_T1_SG_.kd
    .uniform_work_group_size: 1
    .uses_dynamic_stack: false
    .vgpr_count:     0
    .vgpr_spill_count: 0
    .wavefront_size: 64
  - .args:
      - .offset:         0
        .size:           16
        .value_kind:     by_value
      - .offset:         16
        .size:           8
        .value_kind:     by_value
      - .offset:         24
        .size:           8
        .value_kind:     by_value
    .group_segment_fixed_size: 0
    .kernarg_segment_align: 8
    .kernarg_segment_size: 32
    .language:       OpenCL C
    .language_version:
      - 2
      - 0
    .max_flat_workgroup_size: 256
    .name:           _ZN6thrust23THRUST_200600_302600_NS11hip_rocprim14__parallel_for6kernelILj256ENS1_10for_each_fINS0_6detail15normal_iteratorINS0_10device_ptrI11FixedVectorIiLj2EEEEEENS5_16wrapped_functionI24SetFixedVectorToConstantIiLj2EEvEEEElLj1EEEvT0_T1_SI_
    .private_segment_fixed_size: 0
    .sgpr_count:     20
    .sgpr_spill_count: 0
    .symbol:         _ZN6thrust23THRUST_200600_302600_NS11hip_rocprim14__parallel_for6kernelILj256ENS1_10for_each_fINS0_6detail15normal_iteratorINS0_10device_ptrI11FixedVectorIiLj2EEEEEENS5_16wrapped_functionI24SetFixedVectorToConstantIiLj2EEvEEEElLj1EEEvT0_T1_SI_.kd
    .uniform_work_group_size: 1
    .uses_dynamic_stack: false
    .vgpr_count:     5
    .vgpr_spill_count: 0
    .wavefront_size: 64
  - .args:
      - .offset:         0
        .size:           16
        .value_kind:     by_value
      - .offset:         16
        .size:           8
        .value_kind:     by_value
      - .offset:         24
        .size:           8
        .value_kind:     by_value
    .group_segment_fixed_size: 0
    .kernarg_segment_align: 8
    .kernarg_segment_size: 32
    .language:       OpenCL C
    .language_version:
      - 2
      - 0
    .max_flat_workgroup_size: 256
    .name:           _ZN6thrust23THRUST_200600_302600_NS11hip_rocprim14__parallel_for6kernelILj256ENS1_10for_each_fINS0_10device_ptrI11FixedVectorIiLj4EEEENS0_6detail16wrapped_functionINS9_23allocator_traits_detail5gozerEvEEEElLj1EEEvT0_T1_SG_
    .private_segment_fixed_size: 0
    .sgpr_count:     4
    .sgpr_spill_count: 0
    .symbol:         _ZN6thrust23THRUST_200600_302600_NS11hip_rocprim14__parallel_for6kernelILj256ENS1_10for_each_fINS0_10device_ptrI11FixedVectorIiLj4EEEENS0_6detail16wrapped_functionINS9_23allocator_traits_detail5gozerEvEEEElLj1EEEvT0_T1_SG_.kd
    .uniform_work_group_size: 1
    .uses_dynamic_stack: false
    .vgpr_count:     0
    .vgpr_spill_count: 0
    .wavefront_size: 64
  - .args:
      - .offset:         0
        .size:           24
        .value_kind:     by_value
      - .offset:         24
        .size:           8
        .value_kind:     by_value
      - .offset:         32
        .size:           8
        .value_kind:     by_value
    .group_segment_fixed_size: 0
    .kernarg_segment_align: 8
    .kernarg_segment_size: 40
    .language:       OpenCL C
    .language_version:
      - 2
      - 0
    .max_flat_workgroup_size: 256
    .name:           _ZN6thrust23THRUST_200600_302600_NS11hip_rocprim14__parallel_for6kernelILj256ENS1_10for_each_fINS0_6detail15normal_iteratorINS0_10device_ptrI11FixedVectorIiLj4EEEEEENS5_16wrapped_functionI24SetFixedVectorToConstantIiLj4EEvEEEElLj1EEEvT0_T1_SI_
    .private_segment_fixed_size: 0
    .sgpr_count:     18
    .sgpr_spill_count: 0
    .symbol:         _ZN6thrust23THRUST_200600_302600_NS11hip_rocprim14__parallel_for6kernelILj256ENS1_10for_each_fINS0_6detail15normal_iteratorINS0_10device_ptrI11FixedVectorIiLj4EEEEEENS5_16wrapped_functionI24SetFixedVectorToConstantIiLj4EEvEEEElLj1EEEvT0_T1_SI_.kd
    .uniform_work_group_size: 1
    .uses_dynamic_stack: false
    .vgpr_count:     7
    .vgpr_spill_count: 0
    .wavefront_size: 64
  - .args:
      - .offset:         0
        .size:           16
        .value_kind:     by_value
      - .offset:         16
        .size:           8
        .value_kind:     by_value
      - .offset:         24
        .size:           8
        .value_kind:     by_value
    .group_segment_fixed_size: 0
    .kernarg_segment_align: 8
    .kernarg_segment_size: 32
    .language:       OpenCL C
    .language_version:
      - 2
      - 0
    .max_flat_workgroup_size: 256
    .name:           _ZN6thrust23THRUST_200600_302600_NS11hip_rocprim14__parallel_for6kernelILj256ENS1_10for_each_fINS0_10device_ptrI11FixedVectorIiLj8EEEENS0_6detail16wrapped_functionINS9_23allocator_traits_detail5gozerEvEEEElLj1EEEvT0_T1_SG_
    .private_segment_fixed_size: 0
    .sgpr_count:     4
    .sgpr_spill_count: 0
    .symbol:         _ZN6thrust23THRUST_200600_302600_NS11hip_rocprim14__parallel_for6kernelILj256ENS1_10for_each_fINS0_10device_ptrI11FixedVectorIiLj8EEEENS0_6detail16wrapped_functionINS9_23allocator_traits_detail5gozerEvEEEElLj1EEEvT0_T1_SG_.kd
    .uniform_work_group_size: 1
    .uses_dynamic_stack: false
    .vgpr_count:     0
    .vgpr_spill_count: 0
    .wavefront_size: 64
  - .args:
      - .offset:         0
        .size:           40
        .value_kind:     by_value
      - .offset:         40
        .size:           8
        .value_kind:     by_value
      - .offset:         48
        .size:           8
        .value_kind:     by_value
    .group_segment_fixed_size: 0
    .kernarg_segment_align: 8
    .kernarg_segment_size: 56
    .language:       OpenCL C
    .language_version:
      - 2
      - 0
    .max_flat_workgroup_size: 256
    .name:           _ZN6thrust23THRUST_200600_302600_NS11hip_rocprim14__parallel_for6kernelILj256ENS1_10for_each_fINS0_6detail15normal_iteratorINS0_10device_ptrI11FixedVectorIiLj8EEEEEENS5_16wrapped_functionI24SetFixedVectorToConstantIiLj8EEvEEEElLj1EEEvT0_T1_SI_
    .private_segment_fixed_size: 0
    .sgpr_count:     20
    .sgpr_spill_count: 0
    .symbol:         _ZN6thrust23THRUST_200600_302600_NS11hip_rocprim14__parallel_for6kernelILj256ENS1_10for_each_fINS0_6detail15normal_iteratorINS0_10device_ptrI11FixedVectorIiLj8EEEEEENS5_16wrapped_functionI24SetFixedVectorToConstantIiLj8EEvEEEElLj1EEEvT0_T1_SI_.kd
    .uniform_work_group_size: 1
    .uses_dynamic_stack: false
    .vgpr_count:     11
    .vgpr_spill_count: 0
    .wavefront_size: 64
  - .args:
      - .offset:         0
        .size:           16
        .value_kind:     by_value
      - .offset:         16
        .size:           8
        .value_kind:     by_value
      - .offset:         24
        .size:           8
        .value_kind:     by_value
    .group_segment_fixed_size: 0
    .kernarg_segment_align: 8
    .kernarg_segment_size: 32
    .language:       OpenCL C
    .language_version:
      - 2
      - 0
    .max_flat_workgroup_size: 256
    .name:           _ZN6thrust23THRUST_200600_302600_NS11hip_rocprim14__parallel_for6kernelILj256ENS1_10for_each_fINS0_10device_ptrI11FixedVectorIiLj16EEEENS0_6detail16wrapped_functionINS9_23allocator_traits_detail5gozerEvEEEElLj1EEEvT0_T1_SG_
    .private_segment_fixed_size: 0
    .sgpr_count:     4
    .sgpr_spill_count: 0
    .symbol:         _ZN6thrust23THRUST_200600_302600_NS11hip_rocprim14__parallel_for6kernelILj256ENS1_10for_each_fINS0_10device_ptrI11FixedVectorIiLj16EEEENS0_6detail16wrapped_functionINS9_23allocator_traits_detail5gozerEvEEEElLj1EEEvT0_T1_SG_.kd
    .uniform_work_group_size: 1
    .uses_dynamic_stack: false
    .vgpr_count:     0
    .vgpr_spill_count: 0
    .wavefront_size: 64
  - .args:
      - .offset:         0
        .size:           72
        .value_kind:     by_value
      - .offset:         72
        .size:           8
        .value_kind:     by_value
      - .offset:         80
        .size:           8
        .value_kind:     by_value
    .group_segment_fixed_size: 0
    .kernarg_segment_align: 8
    .kernarg_segment_size: 88
    .language:       OpenCL C
    .language_version:
      - 2
      - 0
    .max_flat_workgroup_size: 256
    .name:           _ZN6thrust23THRUST_200600_302600_NS11hip_rocprim14__parallel_for6kernelILj256ENS1_10for_each_fINS0_6detail15normal_iteratorINS0_10device_ptrI11FixedVectorIiLj16EEEEEENS5_16wrapped_functionI24SetFixedVectorToConstantIiLj16EEvEEEElLj1EEEvT0_T1_SI_
    .private_segment_fixed_size: 0
    .sgpr_count:     28
    .sgpr_spill_count: 0
    .symbol:         _ZN6thrust23THRUST_200600_302600_NS11hip_rocprim14__parallel_for6kernelILj256ENS1_10for_each_fINS0_6detail15normal_iteratorINS0_10device_ptrI11FixedVectorIiLj16EEEEEENS5_16wrapped_functionI24SetFixedVectorToConstantIiLj16EEvEEEElLj1EEEvT0_T1_SI_.kd
    .uniform_work_group_size: 1
    .uses_dynamic_stack: false
    .vgpr_count:     15
    .vgpr_spill_count: 0
    .wavefront_size: 64
  - .args:
      - .offset:         0
        .size:           16
        .value_kind:     by_value
      - .offset:         16
        .size:           8
        .value_kind:     by_value
      - .offset:         24
        .size:           8
        .value_kind:     by_value
    .group_segment_fixed_size: 0
    .kernarg_segment_align: 8
    .kernarg_segment_size: 32
    .language:       OpenCL C
    .language_version:
      - 2
      - 0
    .max_flat_workgroup_size: 256
    .name:           _ZN6thrust23THRUST_200600_302600_NS11hip_rocprim14__parallel_for6kernelILj256ENS1_10for_each_fINS0_10device_ptrI11FixedVectorIiLj32EEEENS0_6detail16wrapped_functionINS9_23allocator_traits_detail5gozerEvEEEElLj1EEEvT0_T1_SG_
    .private_segment_fixed_size: 0
    .sgpr_count:     4
    .sgpr_spill_count: 0
    .symbol:         _ZN6thrust23THRUST_200600_302600_NS11hip_rocprim14__parallel_for6kernelILj256ENS1_10for_each_fINS0_10device_ptrI11FixedVectorIiLj32EEEENS0_6detail16wrapped_functionINS9_23allocator_traits_detail5gozerEvEEEElLj1EEEvT0_T1_SG_.kd
    .uniform_work_group_size: 1
    .uses_dynamic_stack: false
    .vgpr_count:     0
    .vgpr_spill_count: 0
    .wavefront_size: 64
  - .args:
      - .offset:         0
        .size:           136
        .value_kind:     by_value
      - .offset:         136
        .size:           8
        .value_kind:     by_value
      - .offset:         144
        .size:           8
        .value_kind:     by_value
    .group_segment_fixed_size: 0
    .kernarg_segment_align: 8
    .kernarg_segment_size: 152
    .language:       OpenCL C
    .language_version:
      - 2
      - 0
    .max_flat_workgroup_size: 256
    .name:           _ZN6thrust23THRUST_200600_302600_NS11hip_rocprim14__parallel_for6kernelILj256ENS1_10for_each_fINS0_6detail15normal_iteratorINS0_10device_ptrI11FixedVectorIiLj32EEEEEENS5_16wrapped_functionI24SetFixedVectorToConstantIiLj32EEvEEEElLj1EEEvT0_T1_SI_
    .private_segment_fixed_size: 0
    .sgpr_count:     28
    .sgpr_spill_count: 0
    .symbol:         _ZN6thrust23THRUST_200600_302600_NS11hip_rocprim14__parallel_for6kernelILj256ENS1_10for_each_fINS0_6detail15normal_iteratorINS0_10device_ptrI11FixedVectorIiLj32EEEEEENS5_16wrapped_functionI24SetFixedVectorToConstantIiLj32EEvEEEElLj1EEEvT0_T1_SI_.kd
    .uniform_work_group_size: 1
    .uses_dynamic_stack: false
    .vgpr_count:     15
    .vgpr_spill_count: 0
    .wavefront_size: 64
  - .args:
      - .offset:         0
        .size:           16
        .value_kind:     by_value
      - .offset:         16
        .size:           8
        .value_kind:     by_value
      - .offset:         24
        .size:           8
        .value_kind:     by_value
    .group_segment_fixed_size: 0
    .kernarg_segment_align: 8
    .kernarg_segment_size: 32
    .language:       OpenCL C
    .language_version:
      - 2
      - 0
    .max_flat_workgroup_size: 256
    .name:           _ZN6thrust23THRUST_200600_302600_NS11hip_rocprim14__parallel_for6kernelILj256ENS1_10for_each_fINS0_10device_ptrI11FixedVectorIiLj64EEEENS0_6detail16wrapped_functionINS9_23allocator_traits_detail5gozerEvEEEElLj1EEEvT0_T1_SG_
    .private_segment_fixed_size: 0
    .sgpr_count:     4
    .sgpr_spill_count: 0
    .symbol:         _ZN6thrust23THRUST_200600_302600_NS11hip_rocprim14__parallel_for6kernelILj256ENS1_10for_each_fINS0_10device_ptrI11FixedVectorIiLj64EEEENS0_6detail16wrapped_functionINS9_23allocator_traits_detail5gozerEvEEEElLj1EEEvT0_T1_SG_.kd
    .uniform_work_group_size: 1
    .uses_dynamic_stack: false
    .vgpr_count:     0
    .vgpr_spill_count: 0
    .wavefront_size: 64
  - .args:
      - .offset:         0
        .size:           264
        .value_kind:     by_value
      - .offset:         264
        .size:           8
        .value_kind:     by_value
      - .offset:         272
        .size:           8
        .value_kind:     by_value
    .group_segment_fixed_size: 0
    .kernarg_segment_align: 8
    .kernarg_segment_size: 280
    .language:       OpenCL C
    .language_version:
      - 2
      - 0
    .max_flat_workgroup_size: 256
    .name:           _ZN6thrust23THRUST_200600_302600_NS11hip_rocprim14__parallel_for6kernelILj256ENS1_10for_each_fINS0_6detail15normal_iteratorINS0_10device_ptrI11FixedVectorIiLj64EEEEEENS5_16wrapped_functionI24SetFixedVectorToConstantIiLj64EEvEEEElLj1EEEvT0_T1_SI_
    .private_segment_fixed_size: 0
    .sgpr_count:     72
    .sgpr_spill_count: 0
    .symbol:         _ZN6thrust23THRUST_200600_302600_NS11hip_rocprim14__parallel_for6kernelILj256ENS1_10for_each_fINS0_6detail15normal_iteratorINS0_10device_ptrI11FixedVectorIiLj64EEEEEENS5_16wrapped_functionI24SetFixedVectorToConstantIiLj64EEvEEEElLj1EEEvT0_T1_SI_.kd
    .uniform_work_group_size: 1
    .uses_dynamic_stack: false
    .vgpr_count:     11
    .vgpr_spill_count: 0
    .wavefront_size: 64
  - .args:
      - .offset:         0
        .size:           16
        .value_kind:     by_value
      - .offset:         16
        .size:           8
        .value_kind:     by_value
      - .offset:         24
        .size:           8
        .value_kind:     by_value
    .group_segment_fixed_size: 0
    .kernarg_segment_align: 8
    .kernarg_segment_size: 32
    .language:       OpenCL C
    .language_version:
      - 2
      - 0
    .max_flat_workgroup_size: 256
    .name:           _ZN6thrust23THRUST_200600_302600_NS11hip_rocprim14__parallel_for6kernelILj256ENS1_10for_each_fINS0_10device_ptrI11FixedVectorIiLj128EEEENS0_6detail16wrapped_functionINS9_23allocator_traits_detail5gozerEvEEEElLj1EEEvT0_T1_SG_
    .private_segment_fixed_size: 0
    .sgpr_count:     4
    .sgpr_spill_count: 0
    .symbol:         _ZN6thrust23THRUST_200600_302600_NS11hip_rocprim14__parallel_for6kernelILj256ENS1_10for_each_fINS0_10device_ptrI11FixedVectorIiLj128EEEENS0_6detail16wrapped_functionINS9_23allocator_traits_detail5gozerEvEEEElLj1EEEvT0_T1_SG_.kd
    .uniform_work_group_size: 1
    .uses_dynamic_stack: false
    .vgpr_count:     0
    .vgpr_spill_count: 0
    .wavefront_size: 64
  - .args:
      - .offset:         0
        .size:           520
        .value_kind:     by_value
      - .offset:         520
        .size:           8
        .value_kind:     by_value
      - .offset:         528
        .size:           8
        .value_kind:     by_value
    .group_segment_fixed_size: 0
    .kernarg_segment_align: 8
    .kernarg_segment_size: 536
    .language:       OpenCL C
    .language_version:
      - 2
      - 0
    .max_flat_workgroup_size: 256
    .name:           _ZN6thrust23THRUST_200600_302600_NS11hip_rocprim14__parallel_for6kernelILj256ENS1_10for_each_fINS0_6detail15normal_iteratorINS0_10device_ptrI11FixedVectorIiLj128EEEEEENS5_16wrapped_functionI24SetFixedVectorToConstantIiLj128EEvEEEElLj1EEEvT0_T1_SI_
    .private_segment_fixed_size: 0
    .sgpr_count:     72
    .sgpr_spill_count: 0
    .symbol:         _ZN6thrust23THRUST_200600_302600_NS11hip_rocprim14__parallel_for6kernelILj256ENS1_10for_each_fINS0_6detail15normal_iteratorINS0_10device_ptrI11FixedVectorIiLj128EEEEEENS5_16wrapped_functionI24SetFixedVectorToConstantIiLj128EEvEEEElLj1EEEvT0_T1_SI_.kd
    .uniform_work_group_size: 1
    .uses_dynamic_stack: false
    .vgpr_count:     11
    .vgpr_spill_count: 0
    .wavefront_size: 64
  - .args:
      - .offset:         0
        .size:           16
        .value_kind:     by_value
      - .offset:         16
        .size:           8
        .value_kind:     by_value
      - .offset:         24
        .size:           8
        .value_kind:     by_value
    .group_segment_fixed_size: 0
    .kernarg_segment_align: 8
    .kernarg_segment_size: 32
    .language:       OpenCL C
    .language_version:
      - 2
      - 0
    .max_flat_workgroup_size: 256
    .name:           _ZN6thrust23THRUST_200600_302600_NS11hip_rocprim14__parallel_for6kernelILj256ENS1_10for_each_fINS0_10device_ptrI11FixedVectorIiLj256EEEENS0_6detail16wrapped_functionINS9_23allocator_traits_detail5gozerEvEEEElLj1EEEvT0_T1_SG_
    .private_segment_fixed_size: 0
    .sgpr_count:     4
    .sgpr_spill_count: 0
    .symbol:         _ZN6thrust23THRUST_200600_302600_NS11hip_rocprim14__parallel_for6kernelILj256ENS1_10for_each_fINS0_10device_ptrI11FixedVectorIiLj256EEEENS0_6detail16wrapped_functionINS9_23allocator_traits_detail5gozerEvEEEElLj1EEEvT0_T1_SG_.kd
    .uniform_work_group_size: 1
    .uses_dynamic_stack: false
    .vgpr_count:     0
    .vgpr_spill_count: 0
    .wavefront_size: 64
  - .args:
      - .offset:         0
        .size:           1032
        .value_kind:     by_value
      - .offset:         1032
        .size:           8
        .value_kind:     by_value
      - .offset:         1040
        .size:           8
        .value_kind:     by_value
    .group_segment_fixed_size: 0
    .kernarg_segment_align: 8
    .kernarg_segment_size: 1048
    .language:       OpenCL C
    .language_version:
      - 2
      - 0
    .max_flat_workgroup_size: 256
    .name:           _ZN6thrust23THRUST_200600_302600_NS11hip_rocprim14__parallel_for6kernelILj256ENS1_10for_each_fINS0_6detail15normal_iteratorINS0_10device_ptrI11FixedVectorIiLj256EEEEEENS5_16wrapped_functionI24SetFixedVectorToConstantIiLj256EEvEEEElLj1EEEvT0_T1_SI_
    .private_segment_fixed_size: 0
    .sgpr_count:     72
    .sgpr_spill_count: 0
    .symbol:         _ZN6thrust23THRUST_200600_302600_NS11hip_rocprim14__parallel_for6kernelILj256ENS1_10for_each_fINS0_6detail15normal_iteratorINS0_10device_ptrI11FixedVectorIiLj256EEEEEENS5_16wrapped_functionI24SetFixedVectorToConstantIiLj256EEvEEEElLj1EEEvT0_T1_SI_.kd
    .uniform_work_group_size: 1
    .uses_dynamic_stack: false
    .vgpr_count:     11
    .vgpr_spill_count: 0
    .wavefront_size: 64
  - .args:
      - .offset:         0
        .size:           16
        .value_kind:     by_value
      - .offset:         16
        .size:           8
        .value_kind:     by_value
      - .offset:         24
        .size:           8
        .value_kind:     by_value
    .group_segment_fixed_size: 0
    .kernarg_segment_align: 8
    .kernarg_segment_size: 32
    .language:       OpenCL C
    .language_version:
      - 2
      - 0
    .max_flat_workgroup_size: 256
    .name:           _ZN6thrust23THRUST_200600_302600_NS11hip_rocprim14__parallel_for6kernelILj256ENS1_10for_each_fINS0_10device_ptrI11FixedVectorIiLj512EEEENS0_6detail16wrapped_functionINS9_23allocator_traits_detail5gozerEvEEEElLj1EEEvT0_T1_SG_
    .private_segment_fixed_size: 0
    .sgpr_count:     4
    .sgpr_spill_count: 0
    .symbol:         _ZN6thrust23THRUST_200600_302600_NS11hip_rocprim14__parallel_for6kernelILj256ENS1_10for_each_fINS0_10device_ptrI11FixedVectorIiLj512EEEENS0_6detail16wrapped_functionINS9_23allocator_traits_detail5gozerEvEEEElLj1EEEvT0_T1_SG_.kd
    .uniform_work_group_size: 1
    .uses_dynamic_stack: false
    .vgpr_count:     0
    .vgpr_spill_count: 0
    .wavefront_size: 64
  - .args:
      - .offset:         0
        .size:           2056
        .value_kind:     by_value
      - .offset:         2056
        .size:           8
        .value_kind:     by_value
      - .offset:         2064
        .size:           8
        .value_kind:     by_value
    .group_segment_fixed_size: 0
    .kernarg_segment_align: 8
    .kernarg_segment_size: 2072
    .language:       OpenCL C
    .language_version:
      - 2
      - 0
    .max_flat_workgroup_size: 256
    .name:           _ZN6thrust23THRUST_200600_302600_NS11hip_rocprim14__parallel_for6kernelILj256ENS1_10for_each_fINS0_6detail15normal_iteratorINS0_10device_ptrI11FixedVectorIiLj512EEEEEENS5_16wrapped_functionI24SetFixedVectorToConstantIiLj512EEvEEEElLj1EEEvT0_T1_SI_
    .private_segment_fixed_size: 0
    .sgpr_count:     72
    .sgpr_spill_count: 0
    .symbol:         _ZN6thrust23THRUST_200600_302600_NS11hip_rocprim14__parallel_for6kernelILj256ENS1_10for_each_fINS0_6detail15normal_iteratorINS0_10device_ptrI11FixedVectorIiLj512EEEEEENS5_16wrapped_functionI24SetFixedVectorToConstantIiLj512EEvEEEElLj1EEEvT0_T1_SI_.kd
    .uniform_work_group_size: 1
    .uses_dynamic_stack: false
    .vgpr_count:     23
    .vgpr_spill_count: 0
    .wavefront_size: 64
  - .args:
      - .offset:         0
        .size:           16
        .value_kind:     by_value
      - .offset:         16
        .size:           8
        .value_kind:     by_value
      - .offset:         24
        .size:           8
        .value_kind:     by_value
    .group_segment_fixed_size: 0
    .kernarg_segment_align: 8
    .kernarg_segment_size: 32
    .language:       OpenCL C
    .language_version:
      - 2
      - 0
    .max_flat_workgroup_size: 256
    .name:           _ZN6thrust23THRUST_200600_302600_NS11hip_rocprim14__parallel_for6kernelILj256ENS1_10for_each_fINS0_10device_ptrI11FixedVectorIiLj1024EEEENS0_6detail16wrapped_functionINS9_23allocator_traits_detail5gozerEvEEEElLj1EEEvT0_T1_SG_
    .private_segment_fixed_size: 0
    .sgpr_count:     4
    .sgpr_spill_count: 0
    .symbol:         _ZN6thrust23THRUST_200600_302600_NS11hip_rocprim14__parallel_for6kernelILj256ENS1_10for_each_fINS0_10device_ptrI11FixedVectorIiLj1024EEEENS0_6detail16wrapped_functionINS9_23allocator_traits_detail5gozerEvEEEElLj1EEEvT0_T1_SG_.kd
    .uniform_work_group_size: 1
    .uses_dynamic_stack: false
    .vgpr_count:     0
    .vgpr_spill_count: 0
    .wavefront_size: 64
  - .args:
      - .offset:         0
        .size:           4104
        .value_kind:     by_value
      - .offset:         4104
        .size:           8
        .value_kind:     by_value
      - .offset:         4112
        .size:           8
        .value_kind:     by_value
    .group_segment_fixed_size: 0
    .kernarg_segment_align: 8
    .kernarg_segment_size: 4120
    .language:       OpenCL C
    .language_version:
      - 2
      - 0
    .max_flat_workgroup_size: 256
    .name:           _ZN6thrust23THRUST_200600_302600_NS11hip_rocprim14__parallel_for6kernelILj256ENS1_10for_each_fINS0_6detail15normal_iteratorINS0_10device_ptrI11FixedVectorIiLj1024EEEEEENS5_16wrapped_functionI24SetFixedVectorToConstantIiLj1024EEvEEEElLj1EEEvT0_T1_SI_
    .private_segment_fixed_size: 0
    .sgpr_count:     72
    .sgpr_spill_count: 0
    .symbol:         _ZN6thrust23THRUST_200600_302600_NS11hip_rocprim14__parallel_for6kernelILj256ENS1_10for_each_fINS0_6detail15normal_iteratorINS0_10device_ptrI11FixedVectorIiLj1024EEEEEENS5_16wrapped_functionI24SetFixedVectorToConstantIiLj1024EEvEEEElLj1EEEvT0_T1_SI_.kd
    .uniform_work_group_size: 1
    .uses_dynamic_stack: false
    .vgpr_count:     23
    .vgpr_spill_count: 0
    .wavefront_size: 64
  - .args:
      - .offset:         0
        .size:           16
        .value_kind:     by_value
      - .offset:         16
        .size:           8
        .value_kind:     by_value
      - .offset:         24
        .size:           8
        .value_kind:     by_value
    .group_segment_fixed_size: 0
    .kernarg_segment_align: 8
    .kernarg_segment_size: 32
    .language:       OpenCL C
    .language_version:
      - 2
      - 0
    .max_flat_workgroup_size: 256
    .name:           _ZN6thrust23THRUST_200600_302600_NS11hip_rocprim14__parallel_for6kernelILj256ENS1_10for_each_fINS0_6detail15normal_iteratorINS0_10device_ptrI11FixedVectorIiLj1EEEEEENS5_16wrapped_functionI24SetFixedVectorToConstantIiLj1EEvEEEEmLj1EEEvT0_T1_SI_
    .private_segment_fixed_size: 0
    .sgpr_count:     20
    .sgpr_spill_count: 0
    .symbol:         _ZN6thrust23THRUST_200600_302600_NS11hip_rocprim14__parallel_for6kernelILj256ENS1_10for_each_fINS0_6detail15normal_iteratorINS0_10device_ptrI11FixedVectorIiLj1EEEEEENS5_16wrapped_functionI24SetFixedVectorToConstantIiLj1EEvEEEEmLj1EEEvT0_T1_SI_.kd
    .uniform_work_group_size: 1
    .uses_dynamic_stack: false
    .vgpr_count:     4
    .vgpr_spill_count: 0
    .wavefront_size: 64
  - .args:
      - .offset:         0
        .size:           16
        .value_kind:     by_value
      - .offset:         16
        .size:           8
        .value_kind:     by_value
      - .offset:         24
        .size:           8
        .value_kind:     by_value
    .group_segment_fixed_size: 0
    .kernarg_segment_align: 8
    .kernarg_segment_size: 32
    .language:       OpenCL C
    .language_version:
      - 2
      - 0
    .max_flat_workgroup_size: 256
    .name:           _ZN6thrust23THRUST_200600_302600_NS11hip_rocprim14__parallel_for6kernelILj256ENS1_10for_each_fINS0_6detail15normal_iteratorINS0_10device_ptrI11FixedVectorIiLj2EEEEEENS5_16wrapped_functionI24SetFixedVectorToConstantIiLj2EEvEEEEmLj1EEEvT0_T1_SI_
    .private_segment_fixed_size: 0
    .sgpr_count:     20
    .sgpr_spill_count: 0
    .symbol:         _ZN6thrust23THRUST_200600_302600_NS11hip_rocprim14__parallel_for6kernelILj256ENS1_10for_each_fINS0_6detail15normal_iteratorINS0_10device_ptrI11FixedVectorIiLj2EEEEEENS5_16wrapped_functionI24SetFixedVectorToConstantIiLj2EEvEEEEmLj1EEEvT0_T1_SI_.kd
    .uniform_work_group_size: 1
    .uses_dynamic_stack: false
    .vgpr_count:     5
    .vgpr_spill_count: 0
    .wavefront_size: 64
  - .args:
      - .offset:         0
        .size:           24
        .value_kind:     by_value
      - .offset:         24
        .size:           8
        .value_kind:     by_value
      - .offset:         32
        .size:           8
        .value_kind:     by_value
    .group_segment_fixed_size: 0
    .kernarg_segment_align: 8
    .kernarg_segment_size: 40
    .language:       OpenCL C
    .language_version:
      - 2
      - 0
    .max_flat_workgroup_size: 256
    .name:           _ZN6thrust23THRUST_200600_302600_NS11hip_rocprim14__parallel_for6kernelILj256ENS1_10for_each_fINS0_6detail15normal_iteratorINS0_10device_ptrI11FixedVectorIiLj4EEEEEENS5_16wrapped_functionI24SetFixedVectorToConstantIiLj4EEvEEEEmLj1EEEvT0_T1_SI_
    .private_segment_fixed_size: 0
    .sgpr_count:     18
    .sgpr_spill_count: 0
    .symbol:         _ZN6thrust23THRUST_200600_302600_NS11hip_rocprim14__parallel_for6kernelILj256ENS1_10for_each_fINS0_6detail15normal_iteratorINS0_10device_ptrI11FixedVectorIiLj4EEEEEENS5_16wrapped_functionI24SetFixedVectorToConstantIiLj4EEvEEEEmLj1EEEvT0_T1_SI_.kd
    .uniform_work_group_size: 1
    .uses_dynamic_stack: false
    .vgpr_count:     7
    .vgpr_spill_count: 0
    .wavefront_size: 64
  - .args:
      - .offset:         0
        .size:           40
        .value_kind:     by_value
      - .offset:         40
        .size:           8
        .value_kind:     by_value
      - .offset:         48
        .size:           8
        .value_kind:     by_value
    .group_segment_fixed_size: 0
    .kernarg_segment_align: 8
    .kernarg_segment_size: 56
    .language:       OpenCL C
    .language_version:
      - 2
      - 0
    .max_flat_workgroup_size: 256
    .name:           _ZN6thrust23THRUST_200600_302600_NS11hip_rocprim14__parallel_for6kernelILj256ENS1_10for_each_fINS0_6detail15normal_iteratorINS0_10device_ptrI11FixedVectorIiLj8EEEEEENS5_16wrapped_functionI24SetFixedVectorToConstantIiLj8EEvEEEEmLj1EEEvT0_T1_SI_
    .private_segment_fixed_size: 0
    .sgpr_count:     20
    .sgpr_spill_count: 0
    .symbol:         _ZN6thrust23THRUST_200600_302600_NS11hip_rocprim14__parallel_for6kernelILj256ENS1_10for_each_fINS0_6detail15normal_iteratorINS0_10device_ptrI11FixedVectorIiLj8EEEEEENS5_16wrapped_functionI24SetFixedVectorToConstantIiLj8EEvEEEEmLj1EEEvT0_T1_SI_.kd
    .uniform_work_group_size: 1
    .uses_dynamic_stack: false
    .vgpr_count:     11
    .vgpr_spill_count: 0
    .wavefront_size: 64
  - .args:
      - .offset:         0
        .size:           72
        .value_kind:     by_value
      - .offset:         72
        .size:           8
        .value_kind:     by_value
      - .offset:         80
        .size:           8
        .value_kind:     by_value
    .group_segment_fixed_size: 0
    .kernarg_segment_align: 8
    .kernarg_segment_size: 88
    .language:       OpenCL C
    .language_version:
      - 2
      - 0
    .max_flat_workgroup_size: 256
    .name:           _ZN6thrust23THRUST_200600_302600_NS11hip_rocprim14__parallel_for6kernelILj256ENS1_10for_each_fINS0_6detail15normal_iteratorINS0_10device_ptrI11FixedVectorIiLj16EEEEEENS5_16wrapped_functionI24SetFixedVectorToConstantIiLj16EEvEEEEmLj1EEEvT0_T1_SI_
    .private_segment_fixed_size: 0
    .sgpr_count:     28
    .sgpr_spill_count: 0
    .symbol:         _ZN6thrust23THRUST_200600_302600_NS11hip_rocprim14__parallel_for6kernelILj256ENS1_10for_each_fINS0_6detail15normal_iteratorINS0_10device_ptrI11FixedVectorIiLj16EEEEEENS5_16wrapped_functionI24SetFixedVectorToConstantIiLj16EEvEEEEmLj1EEEvT0_T1_SI_.kd
    .uniform_work_group_size: 1
    .uses_dynamic_stack: false
    .vgpr_count:     15
    .vgpr_spill_count: 0
    .wavefront_size: 64
  - .args:
      - .offset:         0
        .size:           136
        .value_kind:     by_value
      - .offset:         136
        .size:           8
        .value_kind:     by_value
      - .offset:         144
        .size:           8
        .value_kind:     by_value
    .group_segment_fixed_size: 0
    .kernarg_segment_align: 8
    .kernarg_segment_size: 152
    .language:       OpenCL C
    .language_version:
      - 2
      - 0
    .max_flat_workgroup_size: 256
    .name:           _ZN6thrust23THRUST_200600_302600_NS11hip_rocprim14__parallel_for6kernelILj256ENS1_10for_each_fINS0_6detail15normal_iteratorINS0_10device_ptrI11FixedVectorIiLj32EEEEEENS5_16wrapped_functionI24SetFixedVectorToConstantIiLj32EEvEEEEmLj1EEEvT0_T1_SI_
    .private_segment_fixed_size: 0
    .sgpr_count:     28
    .sgpr_spill_count: 0
    .symbol:         _ZN6thrust23THRUST_200600_302600_NS11hip_rocprim14__parallel_for6kernelILj256ENS1_10for_each_fINS0_6detail15normal_iteratorINS0_10device_ptrI11FixedVectorIiLj32EEEEEENS5_16wrapped_functionI24SetFixedVectorToConstantIiLj32EEvEEEEmLj1EEEvT0_T1_SI_.kd
    .uniform_work_group_size: 1
    .uses_dynamic_stack: false
    .vgpr_count:     15
    .vgpr_spill_count: 0
    .wavefront_size: 64
  - .args:
      - .offset:         0
        .size:           264
        .value_kind:     by_value
      - .offset:         264
        .size:           8
        .value_kind:     by_value
      - .offset:         272
        .size:           8
        .value_kind:     by_value
    .group_segment_fixed_size: 0
    .kernarg_segment_align: 8
    .kernarg_segment_size: 280
    .language:       OpenCL C
    .language_version:
      - 2
      - 0
    .max_flat_workgroup_size: 256
    .name:           _ZN6thrust23THRUST_200600_302600_NS11hip_rocprim14__parallel_for6kernelILj256ENS1_10for_each_fINS0_6detail15normal_iteratorINS0_10device_ptrI11FixedVectorIiLj64EEEEEENS5_16wrapped_functionI24SetFixedVectorToConstantIiLj64EEvEEEEmLj1EEEvT0_T1_SI_
    .private_segment_fixed_size: 0
    .sgpr_count:     72
    .sgpr_spill_count: 0
    .symbol:         _ZN6thrust23THRUST_200600_302600_NS11hip_rocprim14__parallel_for6kernelILj256ENS1_10for_each_fINS0_6detail15normal_iteratorINS0_10device_ptrI11FixedVectorIiLj64EEEEEENS5_16wrapped_functionI24SetFixedVectorToConstantIiLj64EEvEEEEmLj1EEEvT0_T1_SI_.kd
    .uniform_work_group_size: 1
    .uses_dynamic_stack: false
    .vgpr_count:     11
    .vgpr_spill_count: 0
    .wavefront_size: 64
  - .args:
      - .offset:         0
        .size:           520
        .value_kind:     by_value
      - .offset:         520
        .size:           8
        .value_kind:     by_value
      - .offset:         528
        .size:           8
        .value_kind:     by_value
    .group_segment_fixed_size: 0
    .kernarg_segment_align: 8
    .kernarg_segment_size: 536
    .language:       OpenCL C
    .language_version:
      - 2
      - 0
    .max_flat_workgroup_size: 256
    .name:           _ZN6thrust23THRUST_200600_302600_NS11hip_rocprim14__parallel_for6kernelILj256ENS1_10for_each_fINS0_6detail15normal_iteratorINS0_10device_ptrI11FixedVectorIiLj128EEEEEENS5_16wrapped_functionI24SetFixedVectorToConstantIiLj128EEvEEEEmLj1EEEvT0_T1_SI_
    .private_segment_fixed_size: 0
    .sgpr_count:     72
    .sgpr_spill_count: 0
    .symbol:         _ZN6thrust23THRUST_200600_302600_NS11hip_rocprim14__parallel_for6kernelILj256ENS1_10for_each_fINS0_6detail15normal_iteratorINS0_10device_ptrI11FixedVectorIiLj128EEEEEENS5_16wrapped_functionI24SetFixedVectorToConstantIiLj128EEvEEEEmLj1EEEvT0_T1_SI_.kd
    .uniform_work_group_size: 1
    .uses_dynamic_stack: false
    .vgpr_count:     11
    .vgpr_spill_count: 0
    .wavefront_size: 64
  - .args:
      - .offset:         0
        .size:           1032
        .value_kind:     by_value
      - .offset:         1032
        .size:           8
        .value_kind:     by_value
      - .offset:         1040
        .size:           8
        .value_kind:     by_value
    .group_segment_fixed_size: 0
    .kernarg_segment_align: 8
    .kernarg_segment_size: 1048
    .language:       OpenCL C
    .language_version:
      - 2
      - 0
    .max_flat_workgroup_size: 256
    .name:           _ZN6thrust23THRUST_200600_302600_NS11hip_rocprim14__parallel_for6kernelILj256ENS1_10for_each_fINS0_6detail15normal_iteratorINS0_10device_ptrI11FixedVectorIiLj256EEEEEENS5_16wrapped_functionI24SetFixedVectorToConstantIiLj256EEvEEEEmLj1EEEvT0_T1_SI_
    .private_segment_fixed_size: 0
    .sgpr_count:     72
    .sgpr_spill_count: 0
    .symbol:         _ZN6thrust23THRUST_200600_302600_NS11hip_rocprim14__parallel_for6kernelILj256ENS1_10for_each_fINS0_6detail15normal_iteratorINS0_10device_ptrI11FixedVectorIiLj256EEEEEENS5_16wrapped_functionI24SetFixedVectorToConstantIiLj256EEvEEEEmLj1EEEvT0_T1_SI_.kd
    .uniform_work_group_size: 1
    .uses_dynamic_stack: false
    .vgpr_count:     11
    .vgpr_spill_count: 0
    .wavefront_size: 64
  - .args:
      - .offset:         0
        .size:           2056
        .value_kind:     by_value
      - .offset:         2056
        .size:           8
        .value_kind:     by_value
      - .offset:         2064
        .size:           8
        .value_kind:     by_value
    .group_segment_fixed_size: 0
    .kernarg_segment_align: 8
    .kernarg_segment_size: 2072
    .language:       OpenCL C
    .language_version:
      - 2
      - 0
    .max_flat_workgroup_size: 256
    .name:           _ZN6thrust23THRUST_200600_302600_NS11hip_rocprim14__parallel_for6kernelILj256ENS1_10for_each_fINS0_6detail15normal_iteratorINS0_10device_ptrI11FixedVectorIiLj512EEEEEENS5_16wrapped_functionI24SetFixedVectorToConstantIiLj512EEvEEEEmLj1EEEvT0_T1_SI_
    .private_segment_fixed_size: 0
    .sgpr_count:     72
    .sgpr_spill_count: 0
    .symbol:         _ZN6thrust23THRUST_200600_302600_NS11hip_rocprim14__parallel_for6kernelILj256ENS1_10for_each_fINS0_6detail15normal_iteratorINS0_10device_ptrI11FixedVectorIiLj512EEEEEENS5_16wrapped_functionI24SetFixedVectorToConstantIiLj512EEvEEEEmLj1EEEvT0_T1_SI_.kd
    .uniform_work_group_size: 1
    .uses_dynamic_stack: false
    .vgpr_count:     23
    .vgpr_spill_count: 0
    .wavefront_size: 64
  - .args:
      - .offset:         0
        .size:           4104
        .value_kind:     by_value
      - .offset:         4104
        .size:           8
        .value_kind:     by_value
      - .offset:         4112
        .size:           8
        .value_kind:     by_value
    .group_segment_fixed_size: 0
    .kernarg_segment_align: 8
    .kernarg_segment_size: 4120
    .language:       OpenCL C
    .language_version:
      - 2
      - 0
    .max_flat_workgroup_size: 256
    .name:           _ZN6thrust23THRUST_200600_302600_NS11hip_rocprim14__parallel_for6kernelILj256ENS1_10for_each_fINS0_6detail15normal_iteratorINS0_10device_ptrI11FixedVectorIiLj1024EEEEEENS5_16wrapped_functionI24SetFixedVectorToConstantIiLj1024EEvEEEEmLj1EEEvT0_T1_SI_
    .private_segment_fixed_size: 0
    .sgpr_count:     72
    .sgpr_spill_count: 0
    .symbol:         _ZN6thrust23THRUST_200600_302600_NS11hip_rocprim14__parallel_for6kernelILj256ENS1_10for_each_fINS0_6detail15normal_iteratorINS0_10device_ptrI11FixedVectorIiLj1024EEEEEENS5_16wrapped_functionI24SetFixedVectorToConstantIiLj1024EEvEEEEmLj1EEEvT0_T1_SI_.kd
    .uniform_work_group_size: 1
    .uses_dynamic_stack: false
    .vgpr_count:     23
    .vgpr_spill_count: 0
    .wavefront_size: 64
amdhsa.target:   amdgcn-amd-amdhsa--gfx906
amdhsa.version:
  - 1
  - 2
...

	.end_amdgpu_metadata
